;; amdgpu-corpus repo=ROCm/rocFFT kind=compiled arch=gfx1201 opt=O3
	.text
	.amdgcn_target "amdgcn-amd-amdhsa--gfx1201"
	.amdhsa_code_object_version 6
	.protected	fft_rtc_back_len1701_factors_3_3_3_3_3_7_wgs_63_tpt_63_halfLds_sp_op_CI_CI_unitstride_sbrr_dirReg ; -- Begin function fft_rtc_back_len1701_factors_3_3_3_3_3_7_wgs_63_tpt_63_halfLds_sp_op_CI_CI_unitstride_sbrr_dirReg
	.globl	fft_rtc_back_len1701_factors_3_3_3_3_3_7_wgs_63_tpt_63_halfLds_sp_op_CI_CI_unitstride_sbrr_dirReg
	.p2align	8
	.type	fft_rtc_back_len1701_factors_3_3_3_3_3_7_wgs_63_tpt_63_halfLds_sp_op_CI_CI_unitstride_sbrr_dirReg,@function
fft_rtc_back_len1701_factors_3_3_3_3_3_7_wgs_63_tpt_63_halfLds_sp_op_CI_CI_unitstride_sbrr_dirReg: ; @fft_rtc_back_len1701_factors_3_3_3_3_3_7_wgs_63_tpt_63_halfLds_sp_op_CI_CI_unitstride_sbrr_dirReg
; %bb.0:
	s_clause 0x2
	s_load_b128 s[4:7], s[0:1], 0x0
	s_load_b128 s[8:11], s[0:1], 0x58
	;; [unrolled: 1-line block ×3, first 2 shown]
	v_mul_u32_u24_e32 v1, 0x411, v0
	v_mov_b32_e32 v7, 0
	v_mov_b32_e32 v5, 0
	;; [unrolled: 1-line block ×3, first 2 shown]
	s_delay_alu instid0(VALU_DEP_4) | instskip(NEXT) | instid1(VALU_DEP_1)
	v_lshrrev_b32_e32 v1, 16, v1
	v_dual_mov_b32 v10, v7 :: v_dual_add_nc_u32 v9, ttmp9, v1
	s_wait_kmcnt 0x0
	v_cmp_lt_u64_e64 s2, s[6:7], 2
	s_delay_alu instid0(VALU_DEP_1)
	s_and_b32 vcc_lo, exec_lo, s2
	s_cbranch_vccnz .LBB0_8
; %bb.1:
	s_load_b64 s[2:3], s[0:1], 0x10
	v_mov_b32_e32 v5, 0
	v_mov_b32_e32 v6, 0
	s_delay_alu instid0(VALU_DEP_2)
	v_mov_b32_e32 v1, v5
	s_add_nc_u64 s[16:17], s[14:15], 8
	s_add_nc_u64 s[18:19], s[12:13], 8
	s_mov_b64 s[20:21], 1
	v_mov_b32_e32 v2, v6
	s_wait_kmcnt 0x0
	s_add_nc_u64 s[22:23], s[2:3], 8
	s_mov_b32 s3, 0
.LBB0_2:                                ; =>This Inner Loop Header: Depth=1
	s_load_b64 s[24:25], s[22:23], 0x0
                                        ; implicit-def: $vgpr3_vgpr4
	s_mov_b32 s2, exec_lo
	s_wait_kmcnt 0x0
	v_or_b32_e32 v8, s25, v10
	s_delay_alu instid0(VALU_DEP_1)
	v_cmpx_ne_u64_e32 0, v[7:8]
	s_wait_alu 0xfffe
	s_xor_b32 s26, exec_lo, s2
	s_cbranch_execz .LBB0_4
; %bb.3:                                ;   in Loop: Header=BB0_2 Depth=1
	s_cvt_f32_u32 s2, s24
	s_cvt_f32_u32 s27, s25
	s_sub_nc_u64 s[30:31], 0, s[24:25]
	s_wait_alu 0xfffe
	s_delay_alu instid0(SALU_CYCLE_1) | instskip(SKIP_1) | instid1(SALU_CYCLE_2)
	s_fmamk_f32 s2, s27, 0x4f800000, s2
	s_wait_alu 0xfffe
	v_s_rcp_f32 s2, s2
	s_delay_alu instid0(TRANS32_DEP_1) | instskip(SKIP_1) | instid1(SALU_CYCLE_2)
	s_mul_f32 s2, s2, 0x5f7ffffc
	s_wait_alu 0xfffe
	s_mul_f32 s27, s2, 0x2f800000
	s_wait_alu 0xfffe
	s_delay_alu instid0(SALU_CYCLE_2) | instskip(SKIP_1) | instid1(SALU_CYCLE_2)
	s_trunc_f32 s27, s27
	s_wait_alu 0xfffe
	s_fmamk_f32 s2, s27, 0xcf800000, s2
	s_cvt_u32_f32 s29, s27
	s_wait_alu 0xfffe
	s_delay_alu instid0(SALU_CYCLE_1) | instskip(SKIP_1) | instid1(SALU_CYCLE_2)
	s_cvt_u32_f32 s28, s2
	s_wait_alu 0xfffe
	s_mul_u64 s[34:35], s[30:31], s[28:29]
	s_wait_alu 0xfffe
	s_mul_hi_u32 s37, s28, s35
	s_mul_i32 s36, s28, s35
	s_mul_hi_u32 s2, s28, s34
	s_mul_i32 s33, s29, s34
	s_wait_alu 0xfffe
	s_add_nc_u64 s[36:37], s[2:3], s[36:37]
	s_mul_hi_u32 s27, s29, s34
	s_mul_hi_u32 s38, s29, s35
	s_add_co_u32 s2, s36, s33
	s_wait_alu 0xfffe
	s_add_co_ci_u32 s2, s37, s27
	s_mul_i32 s34, s29, s35
	s_add_co_ci_u32 s35, s38, 0
	s_wait_alu 0xfffe
	s_add_nc_u64 s[34:35], s[2:3], s[34:35]
	s_wait_alu 0xfffe
	v_add_co_u32 v3, s2, s28, s34
	s_delay_alu instid0(VALU_DEP_1) | instskip(SKIP_1) | instid1(VALU_DEP_1)
	s_cmp_lg_u32 s2, 0
	s_add_co_ci_u32 s29, s29, s35
	v_readfirstlane_b32 s28, v3
	s_wait_alu 0xfffe
	s_delay_alu instid0(VALU_DEP_1)
	s_mul_u64 s[30:31], s[30:31], s[28:29]
	s_wait_alu 0xfffe
	s_mul_hi_u32 s35, s28, s31
	s_mul_i32 s34, s28, s31
	s_mul_hi_u32 s2, s28, s30
	s_mul_i32 s33, s29, s30
	s_wait_alu 0xfffe
	s_add_nc_u64 s[34:35], s[2:3], s[34:35]
	s_mul_hi_u32 s27, s29, s30
	s_mul_hi_u32 s28, s29, s31
	s_wait_alu 0xfffe
	s_add_co_u32 s2, s34, s33
	s_add_co_ci_u32 s2, s35, s27
	s_mul_i32 s30, s29, s31
	s_add_co_ci_u32 s31, s28, 0
	s_wait_alu 0xfffe
	s_add_nc_u64 s[30:31], s[2:3], s[30:31]
	s_wait_alu 0xfffe
	v_add_co_u32 v8, s2, v3, s30
	s_delay_alu instid0(VALU_DEP_1) | instskip(SKIP_1) | instid1(VALU_DEP_1)
	s_cmp_lg_u32 s2, 0
	s_add_co_ci_u32 s2, s29, s31
	v_mul_hi_u32 v15, v9, v8
	s_wait_alu 0xfffe
	v_mad_co_u64_u32 v[3:4], null, v9, s2, 0
	v_mad_co_u64_u32 v[11:12], null, v10, v8, 0
	;; [unrolled: 1-line block ×3, first 2 shown]
	s_delay_alu instid0(VALU_DEP_3) | instskip(SKIP_1) | instid1(VALU_DEP_4)
	v_add_co_u32 v3, vcc_lo, v15, v3
	s_wait_alu 0xfffd
	v_add_co_ci_u32_e32 v4, vcc_lo, 0, v4, vcc_lo
	s_delay_alu instid0(VALU_DEP_2) | instskip(SKIP_1) | instid1(VALU_DEP_2)
	v_add_co_u32 v3, vcc_lo, v3, v11
	s_wait_alu 0xfffd
	v_add_co_ci_u32_e32 v3, vcc_lo, v4, v12, vcc_lo
	s_wait_alu 0xfffd
	v_add_co_ci_u32_e32 v4, vcc_lo, 0, v14, vcc_lo
	s_delay_alu instid0(VALU_DEP_2) | instskip(SKIP_1) | instid1(VALU_DEP_2)
	v_add_co_u32 v8, vcc_lo, v3, v13
	s_wait_alu 0xfffd
	v_add_co_ci_u32_e32 v11, vcc_lo, 0, v4, vcc_lo
	s_delay_alu instid0(VALU_DEP_2) | instskip(SKIP_1) | instid1(VALU_DEP_3)
	v_mul_lo_u32 v12, s25, v8
	v_mad_co_u64_u32 v[3:4], null, s24, v8, 0
	v_mul_lo_u32 v13, s24, v11
	s_delay_alu instid0(VALU_DEP_2) | instskip(NEXT) | instid1(VALU_DEP_2)
	v_sub_co_u32 v3, vcc_lo, v9, v3
	v_add3_u32 v4, v4, v13, v12
	s_delay_alu instid0(VALU_DEP_1) | instskip(SKIP_1) | instid1(VALU_DEP_1)
	v_sub_nc_u32_e32 v12, v10, v4
	s_wait_alu 0xfffd
	v_subrev_co_ci_u32_e64 v12, s2, s25, v12, vcc_lo
	v_add_co_u32 v13, s2, v8, 2
	s_wait_alu 0xf1ff
	v_add_co_ci_u32_e64 v14, s2, 0, v11, s2
	v_sub_co_u32 v15, s2, v3, s24
	v_sub_co_ci_u32_e32 v4, vcc_lo, v10, v4, vcc_lo
	s_wait_alu 0xf1ff
	v_subrev_co_ci_u32_e64 v12, s2, 0, v12, s2
	s_delay_alu instid0(VALU_DEP_3) | instskip(NEXT) | instid1(VALU_DEP_3)
	v_cmp_le_u32_e32 vcc_lo, s24, v15
	v_cmp_eq_u32_e64 s2, s25, v4
	s_wait_alu 0xfffd
	v_cndmask_b32_e64 v15, 0, -1, vcc_lo
	v_cmp_le_u32_e32 vcc_lo, s25, v12
	s_wait_alu 0xfffd
	v_cndmask_b32_e64 v16, 0, -1, vcc_lo
	v_cmp_le_u32_e32 vcc_lo, s24, v3
	;; [unrolled: 3-line block ×3, first 2 shown]
	s_wait_alu 0xfffd
	v_cndmask_b32_e64 v17, 0, -1, vcc_lo
	v_cmp_eq_u32_e32 vcc_lo, s25, v12
	s_wait_alu 0xf1ff
	s_delay_alu instid0(VALU_DEP_2)
	v_cndmask_b32_e64 v3, v17, v3, s2
	s_wait_alu 0xfffd
	v_cndmask_b32_e32 v12, v16, v15, vcc_lo
	v_add_co_u32 v15, vcc_lo, v8, 1
	s_wait_alu 0xfffd
	v_add_co_ci_u32_e32 v16, vcc_lo, 0, v11, vcc_lo
	s_delay_alu instid0(VALU_DEP_3) | instskip(SKIP_1) | instid1(VALU_DEP_2)
	v_cmp_ne_u32_e32 vcc_lo, 0, v12
	s_wait_alu 0xfffd
	v_cndmask_b32_e32 v4, v16, v14, vcc_lo
	v_cndmask_b32_e32 v12, v15, v13, vcc_lo
	v_cmp_ne_u32_e32 vcc_lo, 0, v3
	s_wait_alu 0xfffd
	s_delay_alu instid0(VALU_DEP_3) | instskip(NEXT) | instid1(VALU_DEP_3)
	v_cndmask_b32_e32 v4, v11, v4, vcc_lo
	v_cndmask_b32_e32 v3, v8, v12, vcc_lo
.LBB0_4:                                ;   in Loop: Header=BB0_2 Depth=1
	s_wait_alu 0xfffe
	s_and_not1_saveexec_b32 s2, s26
	s_cbranch_execz .LBB0_6
; %bb.5:                                ;   in Loop: Header=BB0_2 Depth=1
	v_cvt_f32_u32_e32 v3, s24
	s_sub_co_i32 s26, 0, s24
	s_delay_alu instid0(VALU_DEP_1) | instskip(NEXT) | instid1(TRANS32_DEP_1)
	v_rcp_iflag_f32_e32 v3, v3
	v_mul_f32_e32 v3, 0x4f7ffffe, v3
	s_delay_alu instid0(VALU_DEP_1) | instskip(SKIP_1) | instid1(VALU_DEP_1)
	v_cvt_u32_f32_e32 v3, v3
	s_wait_alu 0xfffe
	v_mul_lo_u32 v4, s26, v3
	s_delay_alu instid0(VALU_DEP_1) | instskip(NEXT) | instid1(VALU_DEP_1)
	v_mul_hi_u32 v4, v3, v4
	v_add_nc_u32_e32 v3, v3, v4
	s_delay_alu instid0(VALU_DEP_1) | instskip(NEXT) | instid1(VALU_DEP_1)
	v_mul_hi_u32 v3, v9, v3
	v_mul_lo_u32 v4, v3, s24
	v_add_nc_u32_e32 v8, 1, v3
	s_delay_alu instid0(VALU_DEP_2) | instskip(NEXT) | instid1(VALU_DEP_1)
	v_sub_nc_u32_e32 v4, v9, v4
	v_subrev_nc_u32_e32 v11, s24, v4
	v_cmp_le_u32_e32 vcc_lo, s24, v4
	s_wait_alu 0xfffd
	s_delay_alu instid0(VALU_DEP_2) | instskip(NEXT) | instid1(VALU_DEP_1)
	v_dual_cndmask_b32 v4, v4, v11 :: v_dual_cndmask_b32 v3, v3, v8
	v_cmp_le_u32_e32 vcc_lo, s24, v4
	s_delay_alu instid0(VALU_DEP_2) | instskip(SKIP_2) | instid1(VALU_DEP_2)
	v_add_nc_u32_e32 v8, 1, v3
	v_mov_b32_e32 v4, v7
	s_wait_alu 0xfffd
	v_cndmask_b32_e32 v3, v3, v8, vcc_lo
.LBB0_6:                                ;   in Loop: Header=BB0_2 Depth=1
	s_wait_alu 0xfffe
	s_or_b32 exec_lo, exec_lo, s2
	v_mul_lo_u32 v8, v4, s24
	s_delay_alu instid0(VALU_DEP_2)
	v_mul_lo_u32 v13, v3, s25
	s_load_b64 s[26:27], s[18:19], 0x0
	v_mad_co_u64_u32 v[11:12], null, v3, s24, 0
	s_load_b64 s[24:25], s[16:17], 0x0
	s_add_nc_u64 s[20:21], s[20:21], 1
	s_add_nc_u64 s[16:17], s[16:17], 8
	s_wait_alu 0xfffe
	v_cmp_ge_u64_e64 s2, s[20:21], s[6:7]
	s_add_nc_u64 s[18:19], s[18:19], 8
	s_add_nc_u64 s[22:23], s[22:23], 8
	v_add3_u32 v8, v12, v13, v8
	v_sub_co_u32 v9, vcc_lo, v9, v11
	s_wait_alu 0xfffd
	s_delay_alu instid0(VALU_DEP_2) | instskip(SKIP_2) | instid1(VALU_DEP_1)
	v_sub_co_ci_u32_e32 v8, vcc_lo, v10, v8, vcc_lo
	s_and_b32 vcc_lo, exec_lo, s2
	s_wait_kmcnt 0x0
	v_mul_lo_u32 v10, s26, v8
	v_mul_lo_u32 v11, s27, v9
	v_mad_co_u64_u32 v[5:6], null, s26, v9, v[5:6]
	v_mul_lo_u32 v8, s24, v8
	v_mul_lo_u32 v12, s25, v9
	v_mad_co_u64_u32 v[1:2], null, s24, v9, v[1:2]
	s_delay_alu instid0(VALU_DEP_4) | instskip(NEXT) | instid1(VALU_DEP_2)
	v_add3_u32 v6, v11, v6, v10
	v_add3_u32 v2, v12, v2, v8
	s_wait_alu 0xfffe
	s_cbranch_vccnz .LBB0_9
; %bb.7:                                ;   in Loop: Header=BB0_2 Depth=1
	v_dual_mov_b32 v10, v4 :: v_dual_mov_b32 v9, v3
	s_branch .LBB0_2
.LBB0_8:
	v_dual_mov_b32 v1, v5 :: v_dual_mov_b32 v2, v6
	v_dual_mov_b32 v3, v9 :: v_dual_mov_b32 v4, v10
.LBB0_9:
	s_load_b64 s[0:1], s[0:1], 0x28
	v_mul_hi_u32 v8, 0x4104105, v0
	s_lshl_b64 s[6:7], s[6:7], 3
                                        ; implicit-def: $vgpr75
	s_wait_kmcnt 0x0
	v_cmp_gt_u64_e32 vcc_lo, s[0:1], v[3:4]
	v_cmp_le_u64_e64 s0, s[0:1], v[3:4]
	s_delay_alu instid0(VALU_DEP_1)
	s_and_saveexec_b32 s1, s0
	s_wait_alu 0xfffe
	s_xor_b32 s0, exec_lo, s1
; %bb.10:
	v_mul_u32_u24_e32 v5, 63, v8
                                        ; implicit-def: $vgpr8
	s_delay_alu instid0(VALU_DEP_1)
	v_sub_nc_u32_e32 v75, v0, v5
                                        ; implicit-def: $vgpr0
                                        ; implicit-def: $vgpr5_vgpr6
; %bb.11:
	s_wait_alu 0xfffe
	s_or_saveexec_b32 s1, s0
	s_add_nc_u64 s[2:3], s[14:15], s[6:7]
                                        ; implicit-def: $vgpr42
                                        ; implicit-def: $vgpr9
                                        ; implicit-def: $vgpr72
                                        ; implicit-def: $vgpr7
                                        ; implicit-def: $vgpr40
                                        ; implicit-def: $vgpr44
                                        ; implicit-def: $vgpr17
                                        ; implicit-def: $vgpr48
                                        ; implicit-def: $vgpr52
                                        ; implicit-def: $vgpr28
                                        ; implicit-def: $vgpr54
                                        ; implicit-def: $vgpr26
                                        ; implicit-def: $vgpr19
                                        ; implicit-def: $vgpr60
                                        ; implicit-def: $vgpr66
                                        ; implicit-def: $vgpr34
                                        ; implicit-def: $vgpr32
                                        ; implicit-def: $vgpr24
                                        ; implicit-def: $vgpr70
                                        ; implicit-def: $vgpr62
                                        ; implicit-def: $vgpr58
                                        ; implicit-def: $vgpr64
                                        ; implicit-def: $vgpr30
                                        ; implicit-def: $vgpr68
                                        ; implicit-def: $vgpr22
                                        ; implicit-def: $vgpr50
                                        ; implicit-def: $vgpr56
	s_wait_alu 0xfffe
	s_xor_b32 exec_lo, exec_lo, s1
	s_cbranch_execz .LBB0_13
; %bb.12:
	s_add_nc_u64 s[6:7], s[12:13], s[6:7]
	v_lshlrev_b64_e32 v[5:6], 3, v[5:6]
	s_load_b64 s[6:7], s[6:7], 0x0
	s_wait_kmcnt 0x0
	v_mul_lo_u32 v7, s7, v3
	v_mul_lo_u32 v11, s6, v4
	v_mad_co_u64_u32 v[9:10], null, s6, v3, 0
	s_delay_alu instid0(VALU_DEP_1) | instskip(SKIP_1) | instid1(VALU_DEP_2)
	v_add3_u32 v10, v10, v11, v7
	v_mul_u32_u24_e32 v11, 63, v8
	v_lshlrev_b64_e32 v[7:8], 3, v[9:10]
	s_delay_alu instid0(VALU_DEP_2) | instskip(NEXT) | instid1(VALU_DEP_2)
	v_sub_nc_u32_e32 v75, v0, v11
	v_add_co_u32 v0, s0, s8, v7
	s_wait_alu 0xf1ff
	s_delay_alu instid0(VALU_DEP_3) | instskip(NEXT) | instid1(VALU_DEP_3)
	v_add_co_ci_u32_e64 v7, s0, s9, v8, s0
	v_lshlrev_b32_e32 v8, 3, v75
	s_delay_alu instid0(VALU_DEP_3) | instskip(SKIP_1) | instid1(VALU_DEP_3)
	v_add_co_u32 v0, s0, v0, v5
	s_wait_alu 0xf1ff
	v_add_co_ci_u32_e64 v5, s0, v7, v6, s0
	s_delay_alu instid0(VALU_DEP_2) | instskip(SKIP_1) | instid1(VALU_DEP_2)
	v_add_co_u32 v10, s0, v0, v8
	s_wait_alu 0xf1ff
	v_add_co_ci_u32_e64 v11, s0, 0, v5, s0
	s_clause 0x1a
	global_load_b64 v[49:50], v[10:11], off offset:9576
	global_load_b64 v[6:7], v[10:11], off offset:5040
	;; [unrolled: 1-line block ×3, first 2 shown]
	global_load_b64 v[41:42], v[10:11], off
	global_load_b64 v[55:56], v[10:11], off offset:504
	global_load_b64 v[21:22], v[10:11], off offset:1008
	;; [unrolled: 1-line block ×23, first 2 shown]
.LBB0_13:
	s_or_b32 exec_lo, exec_lo, s1
	s_wait_loadcnt 0x4
	v_dual_add_f32 v0, v8, v71 :: v_dual_add_f32 v5, v41, v8
	v_dual_add_f32 v10, v9, v72 :: v_dual_add_f32 v85, v42, v9
	v_sub_f32_e32 v11, v9, v72
	s_delay_alu instid0(VALU_DEP_3) | instskip(NEXT) | instid1(VALU_DEP_3)
	v_dual_fmac_f32 v41, -0.5, v0 :: v_dual_sub_f32 v0, v8, v71
	v_dual_fmac_f32 v42, -0.5, v10 :: v_dual_add_f32 v9, v6, v49
	s_delay_alu instid0(VALU_DEP_2) | instskip(SKIP_1) | instid1(VALU_DEP_3)
	v_dual_add_f32 v5, v5, v71 :: v_dual_fmamk_f32 v8, v11, 0xbf5db3d7, v41
	v_fmac_f32_e32 v41, 0x3f5db3d7, v11
	v_dual_fmamk_f32 v83, v0, 0x3f5db3d7, v42 :: v_dual_add_f32 v10, v6, v55
	v_fmac_f32_e32 v42, 0xbf5db3d7, v0
	v_dual_add_f32 v0, v7, v50 :: v_dual_fmac_f32 v55, -0.5, v9
	v_sub_f32_e32 v9, v7, v50
	s_delay_alu instid0(VALU_DEP_4) | instskip(SKIP_1) | instid1(VALU_DEP_4)
	v_add_f32_e32 v10, v49, v10
	v_add_f32_e32 v86, v7, v56
	v_fmac_f32_e32 v56, -0.5, v0
	s_delay_alu instid0(VALU_DEP_4) | instskip(SKIP_3) | instid1(VALU_DEP_4)
	v_dual_add_f32 v0, v39, v43 :: v_dual_fmamk_f32 v7, v9, 0xbf5db3d7, v55
	v_fmac_f32_e32 v55, 0x3f5db3d7, v9
	v_sub_f32_e32 v6, v6, v49
	v_add_f32_e32 v9, v39, v21
	v_fmac_f32_e32 v21, -0.5, v0
	v_sub_f32_e32 v0, v40, v44
	v_dual_add_f32 v12, v16, v67 :: v_dual_add_f32 v13, v63, v29
	v_fmamk_f32 v84, v6, 0x3f5db3d7, v56
	s_delay_alu instid0(VALU_DEP_3)
	v_dual_fmac_f32 v56, 0xbf5db3d7, v6 :: v_dual_fmamk_f32 v11, v0, 0xbf5db3d7, v21
	v_dual_add_f32 v6, v43, v9 :: v_dual_fmac_f32 v21, 0x3f5db3d7, v0
	v_add_f32_e32 v9, v47, v67
	v_add_f32_e32 v0, v51, v63
	;; [unrolled: 1-line block ×4, first 2 shown]
	v_dual_add_f32 v35, v25, v61 :: v_dual_add_f32 v38, v18, v59
	v_dual_fmac_f32 v16, -0.5, v9 :: v_dual_sub_f32 v9, v68, v48
	v_fmac_f32_e32 v29, -0.5, v0
	v_sub_f32_e32 v0, v64, v52
	v_mad_u32_u24 v87, v75, 12, 0
	s_wait_loadcnt 0x1
	v_add_f32_e32 v38, v38, v65
	v_fmamk_f32 v14, v9, 0xbf5db3d7, v16
	v_fmac_f32_e32 v16, 0x3f5db3d7, v9
	v_add_f32_e32 v9, v51, v13
	v_add_f32_e32 v13, v53, v57
	v_fmamk_f32 v15, v0, 0xbf5db3d7, v29
	v_dual_fmac_f32 v29, 0x3f5db3d7, v0 :: v_dual_add_f32 v0, v69, v61
	v_add_nc_u32_e32 v89, 0x5e8, v87
	s_delay_alu instid0(VALU_DEP_4) | instskip(SKIP_4) | instid1(VALU_DEP_4)
	v_fmac_f32_e32 v27, -0.5, v13
	v_dual_sub_f32 v13, v54, v58 :: v_dual_add_nc_u32 v88, 0x500, v87
	v_add_nc_u32_e32 v92, 0xb00, v87
	v_add_nc_u32_e32 v90, 0x8dc, v87
	;; [unrolled: 1-line block ×3, first 2 shown]
	v_fmamk_f32 v36, v13, 0xbf5db3d7, v27
	v_fmac_f32_e32 v27, 0x3f5db3d7, v13
	v_add_f32_e32 v13, v69, v35
	v_add_f32_e32 v35, v59, v65
	v_add_nc_u32_e32 v93, 0xec8, v87
	s_load_b64 s[2:3], s[2:3], 0x0
	ds_store_2addr_b32 v87, v41, v55 offset0:2 offset1:191
	ds_store_2addr_b32 v88, v21, v16 offset0:60 offset1:249
	v_dual_fmac_f32 v18, -0.5, v35 :: v_dual_sub_f32 v35, v60, v66
	v_dual_add_f32 v20, v20, v57 :: v_dual_fmac_f32 v25, -0.5, v0
	v_dual_sub_f32 v0, v62, v70 :: v_dual_add_f32 v45, v33, v23
	ds_store_2addr_b32 v89, v6, v11 offset1:1
	ds_store_2addr_b32 v90, v12, v14 offset1:1
	;; [unrolled: 1-line block ×3, first 2 shown]
	ds_store_2addr_b32 v92, v29, v20 offset0:54 offset1:241
	v_add_nc_u32_e32 v29, 0x11bc, v87
	v_fmamk_f32 v37, v0, 0xbf5db3d7, v25
	s_wait_loadcnt 0x0
	v_dual_fmac_f32 v25, 0x3f5db3d7, v0 :: v_dual_add_f32 v0, v33, v31
	ds_store_2addr_b32 v87, v5, v8 offset1:1
	ds_store_2addr_b32 v87, v10, v7 offset0:189 offset1:190
	ds_store_2addr_b32 v93, v36, v27 offset1:1
	v_add_nc_u32_e32 v27, 0x14b0, v87
	v_add_nc_u32_e32 v94, 0x17a4, v87
	v_sub_f32_e32 v39, v39, v43
	v_dual_fmac_f32 v23, -0.5, v0 :: v_dual_fmamk_f32 v46, v35, 0xbf5db3d7, v18
	v_dual_fmac_f32 v18, 0x3f5db3d7, v35 :: v_dual_add_f32 v35, v31, v45
	v_sub_f32_e32 v0, v34, v32
	ds_store_b32 v87, v13 offset:4536
	ds_store_2addr_b32 v29, v37, v25 offset1:1
	ds_store_b32 v87, v38 offset:5292
	ds_store_2addr_b32 v27, v46, v18 offset1:1
	ds_store_b32 v87, v35 offset:6048
	v_add_f32_e32 v18, v40, v22
	v_add_f32_e32 v40, v40, v44
	v_fmamk_f32 v45, v0, 0xbf5db3d7, v23
	v_fmac_f32_e32 v23, 0x3f5db3d7, v0
	v_lshl_add_u32 v0, v75, 2, 0
	v_dual_add_f32 v43, v44, v18 :: v_dual_sub_f32 v44, v67, v47
	v_add_f32_e32 v47, v64, v30
	ds_store_2addr_b32 v94, v45, v23 offset1:1
	v_add_nc_u32_e32 v49, 0x600, v0
	v_add_nc_u32_e32 v76, 0x800, v0
	;; [unrolled: 1-line block ×6, first 2 shown]
	global_wb scope:SCOPE_SE
	s_wait_dscnt 0x0
	s_wait_kmcnt 0x0
	s_barrier_signal -1
	s_barrier_wait -1
	global_inv scope:SCOPE_SE
	ds_load_2addr_b32 v[9:10], v0 offset1:63
	ds_load_2addr_b32 v[5:6], v49 offset0:120 offset1:183
	ds_load_2addr_b32 v[13:14], v55 offset0:110 offset1:173
	ds_load_2addr_b32 v[15:16], v76 offset0:118 offset1:181
	v_add_nc_u32_e32 v77, 0x1400, v0
	v_dual_add_f32 v47, v52, v47 :: v_dual_add_nc_u32 v78, 0xc00, v0
	v_add_nc_u32_e32 v79, 0x400, v0
	v_add_nc_u32_e32 v81, 0x1600, v0
	v_dual_sub_f32 v53, v53, v57 :: v_dual_add_nc_u32 v80, 0xe00, v0
	ds_load_b32 v25, v0 offset:6552
	ds_load_2addr_b32 v[20:21], v0 offset0:126 offset1:189
	ds_load_2addr_b32 v[35:36], v71 offset0:108 offset1:171
	;; [unrolled: 1-line block ×9, first 2 shown]
	global_wb scope:SCOPE_SE
	s_wait_dscnt 0x0
	s_barrier_signal -1
	s_barrier_wait -1
	global_inv scope:SCOPE_SE
	ds_store_2addr_b32 v87, v42, v56 offset0:2 offset1:191
	v_add_f32_e32 v56, v50, v86
	v_add_f32_e32 v42, v17, v68
	v_dual_sub_f32 v50, v63, v51 :: v_dual_add_f32 v51, v28, v54
	v_add_f32_e32 v18, v48, v68
	v_fmac_f32_e32 v22, -0.5, v40
	s_delay_alu instid0(VALU_DEP_4) | instskip(NEXT) | instid1(VALU_DEP_4)
	v_add_f32_e32 v48, v48, v42
	v_dual_add_f32 v42, v52, v64 :: v_dual_add_f32 v51, v51, v58
	v_add_f32_e32 v52, v54, v58
	v_add_f32_e32 v54, v26, v62
	v_dual_add_f32 v57, v70, v62 :: v_dual_fmamk_f32 v62, v39, 0x3f5db3d7, v22
	v_dual_sub_f32 v58, v61, v69 :: v_dual_add_f32 v61, v19, v60
	v_dual_fmac_f32 v22, 0xbf5db3d7, v39 :: v_dual_sub_f32 v59, v59, v65
	v_fmac_f32_e32 v30, -0.5, v42
	s_delay_alu instid0(VALU_DEP_4) | instskip(SKIP_3) | instid1(VALU_DEP_4)
	v_dual_fmac_f32 v17, -0.5, v18 :: v_dual_fmac_f32 v26, -0.5, v57
	v_add_nc_u32_e32 v40, 0x13b, v75
	v_add_f32_e32 v60, v60, v66
	v_dual_add_f32 v61, v61, v66 :: v_dual_fmac_f32 v28, -0.5, v52
	v_fmamk_f32 v52, v44, 0x3f5db3d7, v17
	v_fmac_f32_e32 v17, 0xbf5db3d7, v44
	s_delay_alu instid0(VALU_DEP_4)
	v_dual_fmamk_f32 v44, v50, 0x3f5db3d7, v30 :: v_dual_fmac_f32 v19, -0.5, v60
	v_fmac_f32_e32 v30, 0xbf5db3d7, v50
	v_dual_add_f32 v18, v34, v32 :: v_dual_add_nc_u32 v39, 0x17a, v75
	v_and_b32_e32 v50, 0xffff, v40
	v_add_f32_e32 v23, v85, v72
	v_fmamk_f32 v57, v53, 0x3f5db3d7, v28
	v_fmac_f32_e32 v28, 0xbf5db3d7, v53
	v_fmamk_f32 v53, v58, 0x3f5db3d7, v26
	v_add_f32_e32 v34, v34, v24
	v_and_b32_e32 v42, 0xffff, v39
	ds_store_2addr_b32 v88, v22, v17 offset0:60 offset1:249
	ds_store_2addr_b32 v89, v43, v62 offset1:1
	ds_store_2addr_b32 v90, v48, v52 offset1:1
	;; [unrolled: 1-line block ×3, first 2 shown]
	ds_store_2addr_b32 v92, v30, v51 offset0:54 offset1:241
	v_add_nc_u32_e32 v44, 0x1b9, v75
	v_fmac_f32_e32 v24, -0.5, v18
	v_sub_f32_e32 v18, v33, v31
	v_mul_u32_u24_e32 v33, 0xaaab, v50
	v_fmamk_f32 v31, v59, 0x3f5db3d7, v19
	v_dual_add_f32 v32, v32, v34 :: v_dual_and_b32 v47, 0xffff, v44
	v_add_nc_u32_e32 v43, 0x1f8, v75
	v_fmamk_f32 v34, v18, 0x3f5db3d7, v24
	v_fmac_f32_e32 v24, 0xbf5db3d7, v18
	v_lshrrev_b32_e32 v18, 17, v33
	v_mul_u32_u24_e32 v17, 0xaaab, v42
	v_fmac_f32_e32 v19, 0xbf5db3d7, v59
	ds_store_2addr_b32 v87, v23, v83 offset1:1
	ds_store_2addr_b32 v87, v56, v84 offset0:189 offset1:190
	ds_store_2addr_b32 v93, v57, v28 offset1:1
	v_add_f32_e32 v54, v70, v54
	v_mul_lo_u16 v22, v18, 3
	v_lshrrev_b32_e32 v17, 17, v17
	v_fmac_f32_e32 v26, 0xbf5db3d7, v58
	ds_store_b32 v87, v54 offset:4536
	ds_store_2addr_b32 v29, v53, v26 offset1:1
	ds_store_b32 v87, v61 offset:5292
	v_sub_nc_u16 v22, v40, v22
	v_mul_lo_u16 v28, v17, 3
	ds_store_2addr_b32 v27, v31, v19 offset1:1
	ds_store_b32 v87, v32 offset:6048
	ds_store_2addr_b32 v94, v34, v24 offset1:1
	global_wb scope:SCOPE_SE
	s_wait_dscnt 0x0
	s_barrier_signal -1
	v_and_b32_e32 v23, 0xffff, v22
	v_sub_nc_u16 v22, v39, v28
	s_barrier_wait -1
	global_inv scope:SCOPE_SE
	v_add_nc_u32_e32 v56, 63, v75
	v_cmp_gt_u32_e64 s0, 18, v75
	v_and_b32_e32 v19, 0xffff, v22
	v_lshlrev_b32_e32 v22, 4, v23
	s_delay_alu instid0(VALU_DEP_4) | instskip(NEXT) | instid1(VALU_DEP_3)
	v_and_b32_e32 v58, 0xff, v56
	v_lshlrev_b32_e32 v24, 4, v19
	s_clause 0x1
	global_load_b128 v[28:31], v22, s[4:5]
	global_load_b128 v[86:89], v24, s[4:5]
	v_mul_u32_u24_e32 v22, 0xaaab, v47
	v_and_b32_e32 v48, 0xffff, v43
	v_add_nc_u32_e32 v51, 0xfc, v75
	v_mul_lo_u16 v61, 0xab, v58
	s_delay_alu instid0(VALU_DEP_4) | instskip(NEXT) | instid1(VALU_DEP_4)
	v_lshrrev_b32_e32 v22, 17, v22
	v_mul_u32_u24_e32 v26, 0xaaab, v48
	s_delay_alu instid0(VALU_DEP_3) | instskip(NEXT) | instid1(VALU_DEP_3)
	v_lshrrev_b16 v120, 9, v61
	v_mul_lo_u16 v24, v22, 3
	s_delay_alu instid0(VALU_DEP_3) | instskip(NEXT) | instid1(VALU_DEP_3)
	v_lshrrev_b32_e32 v27, 17, v26
	v_mul_lo_u16 v65, v120, 3
	s_delay_alu instid0(VALU_DEP_3) | instskip(NEXT) | instid1(VALU_DEP_3)
	v_sub_nc_u16 v24, v44, v24
	v_mul_lo_u16 v26, v27, 3
	s_delay_alu instid0(VALU_DEP_3) | instskip(NEXT) | instid1(VALU_DEP_3)
	v_sub_nc_u16 v66, v56, v65
	v_and_b32_e32 v24, 0xffff, v24
	s_delay_alu instid0(VALU_DEP_3) | instskip(NEXT) | instid1(VALU_DEP_2)
	v_sub_nc_u16 v26, v43, v26
	v_lshlrev_b32_e32 v32, 4, v24
	global_load_b128 v[90:93], v32, s[4:5]
	v_and_b32_e32 v115, 0xffff, v26
	s_delay_alu instid0(VALU_DEP_1) | instskip(SKIP_4) | instid1(VALU_DEP_3)
	v_lshlrev_b32_e32 v59, 4, v115
	global_load_b128 v[94:97], v59, s[4:5]
	v_and_b32_e32 v52, 0xffff, v51
	v_and_b32_e32 v57, 0xff, v75
	v_add_nc_u32_e32 v62, 0xbd, v75
	v_mul_u32_u24_e32 v32, 0xaaab, v52
	s_delay_alu instid0(VALU_DEP_2) | instskip(NEXT) | instid1(VALU_DEP_2)
	v_and_b32_e32 v53, 0xff, v62
	v_lshrrev_b32_e32 v114, 17, v32
	v_mul_lo_u16 v32, 0xab, v57
	s_delay_alu instid0(VALU_DEP_3) | instskip(NEXT) | instid1(VALU_DEP_3)
	v_mul_lo_u16 v26, 0xab, v53
	v_mul_lo_u16 v33, v114, 3
	s_delay_alu instid0(VALU_DEP_3) | instskip(NEXT) | instid1(VALU_DEP_3)
	v_lshrrev_b16 v116, 9, v32
	v_lshrrev_b16 v117, 9, v26
	s_delay_alu instid0(VALU_DEP_3) | instskip(NEXT) | instid1(VALU_DEP_3)
	v_sub_nc_u16 v60, v51, v33
	v_mul_lo_u16 v64, v116, 3
	s_delay_alu instid0(VALU_DEP_3)
	v_mul_lo_u16 v26, v117, 3
	ds_load_2addr_b32 v[32:33], v77 offset0:106 offset1:169
	v_and_b32_e32 v119, 0xffff, v60
	ds_load_2addr_b32 v[59:60], v78 offset0:114 offset1:177
	v_sub_nc_u16 v26, v62, v26
	v_lshlrev_b32_e32 v61, 4, v119
	s_delay_alu instid0(VALU_DEP_2)
	v_and_b32_e32 v121, 0xff, v26
	global_load_b128 v[98:101], v61, s[4:5]
	v_sub_nc_u16 v61, v75, v64
	ds_load_2addr_b32 v[64:65], v81 offset0:104 offset1:167
	v_add_nc_u32_e32 v63, 0x7e, v75
	v_lshlrev_b32_e32 v26, 4, v121
	v_and_b32_e32 v123, 0xff, v61
	s_delay_alu instid0(VALU_DEP_3) | instskip(NEXT) | instid1(VALU_DEP_1)
	v_and_b32_e32 v54, 0xff, v63
	v_mul_lo_u16 v34, 0xab, v54
	s_delay_alu instid0(VALU_DEP_1) | instskip(NEXT) | instid1(VALU_DEP_1)
	v_lshrrev_b16 v118, 9, v34
	v_mul_lo_u16 v34, v118, 3
	s_delay_alu instid0(VALU_DEP_1) | instskip(NEXT) | instid1(VALU_DEP_1)
	v_sub_nc_u16 v34, v63, v34
	v_and_b32_e32 v122, 0xff, v34
	s_delay_alu instid0(VALU_DEP_1)
	v_lshlrev_b32_e32 v34, 4, v122
	s_clause 0x1
	global_load_b128 v[102:105], v26, s[4:5]
	global_load_b128 v[106:109], v34, s[4:5]
	v_and_b32_e32 v124, 0xff, v66
	v_lshlrev_b32_e32 v70, 4, v123
	s_wait_loadcnt_dscnt 0x602
	s_delay_alu instid0(VALU_DEP_2)
	v_dual_mul_f32 v69, v33, v31 :: v_dual_lshlrev_b32 v68, 4, v124
	v_mul_f32_e32 v26, v46, v31
	s_wait_dscnt 0x1
	v_mul_f32_e32 v72, v59, v29
	v_mul_f32_e32 v29, v110, v29
	s_wait_loadcnt 0x5
	v_mul_f32_e32 v61, v60, v87
	v_fmac_f32_e32 v69, v46, v30
	v_fma_f32 v66, v33, v30, -v26
	v_fmac_f32_e32 v72, v110, v28
	v_fma_f32 v85, v59, v28, -v29
	s_wait_dscnt 0x0
	v_dual_mul_f32 v26, v111, v87 :: v_dual_mul_f32 v67, v64, v89
	v_mul_f32_e32 v33, v112, v89
	global_load_b128 v[28:31], v68, s[4:5]
	v_fmac_f32_e32 v61, v111, v86
	v_fma_f32 v83, v60, v86, -v26
	v_fmac_f32_e32 v67, v112, v88
	v_fma_f32 v68, v64, v88, -v33
	global_load_b128 v[86:89], v70, s[4:5]
	ds_load_2addr_b32 v[33:34], v80 offset0:112 offset1:175
	ds_load_b32 v60, v0 offset:6552
	s_wait_loadcnt 0x6
	v_mul_f32_e32 v26, v113, v93
	v_mul_f32_e32 v64, v65, v93
	s_delay_alu instid0(VALU_DEP_2) | instskip(SKIP_4) | instid1(VALU_DEP_3)
	v_fma_f32 v70, v65, v92, -v26
	s_wait_dscnt 0x1
	v_mul_f32_e32 v65, v33, v91
	v_mul_f32_e32 v26, v73, v91
	v_fmac_f32_e32 v64, v113, v92
	v_fmac_f32_e32 v65, v73, v90
	s_delay_alu instid0(VALU_DEP_3)
	v_fma_f32 v84, v33, v90, -v26
	ds_load_2addr_b32 v[90:91], v82 offset0:116 offset1:179
	s_wait_loadcnt 0x5
	v_mul_f32_e32 v26, v74, v95
	v_mul_f32_e32 v46, v34, v95
	;; [unrolled: 1-line block ×3, first 2 shown]
	s_wait_dscnt 0x1
	v_mul_f32_e32 v59, v60, v97
	v_fma_f32 v73, v34, v94, -v26
	ds_load_2addr_b32 v[33:34], v71 offset0:108 offset1:171
	v_fmac_f32_e32 v46, v74, v94
	v_fma_f32 v60, v60, v96, -v92
	ds_load_2addr_b32 v[92:93], v76 offset0:118 offset1:181
	ds_load_2addr_b32 v[94:95], v55 offset0:110 offset1:173
	v_fmac_f32_e32 v59, v25, v96
	v_and_b32_e32 v96, 0xffff, v116
	s_wait_loadcnt 0x4
	v_mul_f32_e32 v74, v32, v101
	v_mul_f32_e32 v25, v45, v101
	s_delay_alu instid0(VALU_DEP_2) | instskip(SKIP_2) | instid1(VALU_DEP_3)
	v_dual_mul_f32 v97, v38, v99 :: v_dual_fmac_f32 v74, v45, v100
	s_wait_dscnt 0x3
	v_mul_f32_e32 v45, v91, v99
	v_fma_f32 v99, v32, v100, -v25
	ds_load_2addr_b32 v[25:26], v49 offset0:120 offset1:183
	v_mul_u32_u24_e32 v32, 36, v96
	v_dual_fmac_f32 v45, v38, v98 :: v_dual_lshlrev_b32 v100, 2, v123
	v_fma_f32 v91, v91, v98, -v97
	ds_load_2addr_b32 v[96:97], v0 offset1:63
	v_add3_u32 v100, 0, v32, v100
	s_wait_loadcnt 0x3
	v_mul_f32_e32 v98, v90, v103
	s_wait_dscnt 0x4
	v_dual_mul_f32 v32, v37, v103 :: v_dual_mul_f32 v101, v34, v105
	s_wait_loadcnt 0x2
	v_mul_f32_e32 v103, v33, v109
	v_dual_fmac_f32 v98, v37, v102 :: v_dual_mul_f32 v37, v36, v105
	s_delay_alu instid0(VALU_DEP_3)
	v_fma_f32 v90, v90, v102, -v32
	s_wait_dscnt 0x3
	v_dual_mul_f32 v102, v93, v107 :: v_dual_fmac_f32 v101, v36, v104
	v_fmac_f32_e32 v103, v35, v108
	v_fma_f32 v104, v34, v104, -v37
	v_mul_f32_e32 v34, v16, v107
	s_wait_loadcnt_dscnt 0x102
	v_dual_fmac_f32 v102, v16, v106 :: v_dual_mul_f32 v107, v95, v31
	v_mul_f32_e32 v105, v92, v29
	v_mul_f32_e32 v29, v15, v29
	;; [unrolled: 1-line block ×3, first 2 shown]
	s_delay_alu instid0(VALU_DEP_4) | instskip(SKIP_3) | instid1(VALU_DEP_2)
	v_fmac_f32_e32 v107, v14, v30
	s_wait_loadcnt 0x0
	v_mul_f32_e32 v38, v94, v89
	v_dual_mul_f32 v16, v6, v87 :: v_dual_fmac_f32 v105, v15, v28
	v_fmac_f32_e32 v38, v13, v88
	s_wait_dscnt 0x1
	v_dual_mul_f32 v32, v35, v109 :: v_dual_mul_f32 v109, v26, v87
	s_delay_alu instid0(VALU_DEP_3) | instskip(SKIP_2) | instid1(VALU_DEP_4)
	v_fma_f32 v15, v26, v86, -v16
	v_fma_f32 v87, v92, v28, -v29
	;; [unrolled: 1-line block ×4, first 2 shown]
	v_dual_mul_f32 v32, v13, v89 :: v_dual_fmac_f32 v109, v6, v86
	v_add_f32_e32 v16, v105, v107
	v_dual_add_f32 v28, v10, v105 :: v_dual_lshlrev_b32 v29, 2, v124
	s_delay_alu instid0(VALU_DEP_3) | instskip(NEXT) | instid1(VALU_DEP_4)
	v_fma_f32 v14, v94, v88, -v32
	v_add_f32_e32 v13, v109, v38
	v_add_f32_e32 v6, v9, v109
	v_fmac_f32_e32 v10, -0.5, v16
	v_sub_f32_e32 v16, v87, v92
	v_sub_f32_e32 v26, v15, v14
	v_fma_f32 v9, -0.5, v13, v9
	v_dual_add_f32 v6, v6, v38 :: v_dual_and_b32 v13, 0xffff, v120
	v_add_f32_e32 v113, v87, v92
	s_wait_dscnt 0x0
	s_delay_alu instid0(VALU_DEP_3) | instskip(NEXT) | instid1(VALU_DEP_3)
	v_dual_add_f32 v87, v97, v87 :: v_dual_fmamk_f32 v30, v26, 0xbf5db3d7, v9
	v_mul_u32_u24_e32 v13, 36, v13
	v_fmac_f32_e32 v9, 0x3f5db3d7, v26
	v_fma_f32 v89, v93, v106, -v34
	ds_load_2addr_b32 v[36:37], v0 offset0:126 offset1:189
	ds_load_2addr_b32 v[34:35], v41 offset0:124 offset1:187
	;; [unrolled: 1-line block ×3, first 2 shown]
	global_wb scope:SCOPE_SE
	s_wait_dscnt 0x0
	s_barrier_signal -1
	s_barrier_wait -1
	global_inv scope:SCOPE_SE
	ds_store_2addr_b32 v100, v6, v30 offset1:3
	v_and_b32_e32 v6, 0xffff, v118
	v_add3_u32 v86, 0, v13, v29
	v_add_f32_e32 v13, v28, v107
	v_fmamk_f32 v26, v16, 0xbf5db3d7, v10
	ds_store_b32 v100, v9 offset:24
	ds_store_2addr_b32 v86, v13, v26 offset1:3
	v_dual_add_f32 v9, v102, v103 :: v_dual_fmac_f32 v10, 0x3f5db3d7, v16
	v_mul_u32_u24_e32 v6, 36, v6
	v_lshlrev_b32_e32 v13, 2, v122
	v_add_f32_e32 v16, v20, v102
	s_delay_alu instid0(VALU_DEP_4)
	v_fma_f32 v9, -0.5, v9, v20
	v_sub_f32_e32 v20, v89, v108
	ds_store_b32 v86, v10 offset:24
	v_add3_u32 v88, 0, v6, v13
	v_add_f32_e32 v6, v16, v103
	v_and_b32_e32 v10, 0xffff, v117
	v_dual_add_f32 v16, v98, v101 :: v_dual_fmamk_f32 v13, v20, 0xbf5db3d7, v9
	v_dual_fmac_f32 v9, 0x3f5db3d7, v20 :: v_dual_add_f32 v20, v21, v98
	s_delay_alu instid0(VALU_DEP_3) | instskip(NEXT) | instid1(VALU_DEP_3)
	v_mul_u32_u24_e32 v10, 36, v10
	v_dual_fmac_f32 v21, -0.5, v16 :: v_dual_lshlrev_b32 v26, 2, v121
	v_sub_f32_e32 v16, v90, v104
	ds_store_2addr_b32 v88, v6, v13 offset1:3
	ds_store_b32 v88, v9 offset:24
	v_add_f32_e32 v6, v20, v101
	v_add3_u32 v93, 0, v10, v26
	v_dual_add_f32 v20, v45, v74 :: v_dual_fmamk_f32 v9, v16, 0xbf5db3d7, v21
	v_fmac_f32_e32 v21, 0x3f5db3d7, v16
	v_mul_u32_u24_e32 v10, 36, v114
	v_dual_add_f32 v16, v11, v45 :: v_dual_lshlrev_b32 v13, 2, v119
	ds_store_2addr_b32 v93, v6, v9 offset1:3
	ds_store_b32 v93, v21 offset:24
	v_fma_f32 v9, -0.5, v20, v11
	v_add_f32_e32 v11, v72, v69
	v_add3_u32 v94, 0, v10, v13
	v_add_f32_e32 v6, v16, v74
	v_mul_u32_u24_e32 v13, 36, v18
	v_lshlrev_b32_e32 v16, 2, v23
	v_dual_sub_f32 v10, v91, v99 :: v_dual_sub_f32 v109, v109, v38
	v_add_f32_e32 v18, v12, v72
	v_dual_fmac_f32 v12, -0.5, v11 :: v_dual_fmac_f32 v97, -0.5, v113
	v_add_f32_e32 v11, v61, v67
	v_add3_u32 v95, 0, v13, v16
	v_dual_sub_f32 v13, v85, v66 :: v_dual_fmamk_f32 v20, v10, 0xbf5db3d7, v9
	v_sub_f32_e32 v105, v105, v107
	v_dual_fmac_f32 v9, 0x3f5db3d7, v10 :: v_dual_add_f32 v10, v18, v69
	v_add_f32_e32 v87, v87, v92
	v_mul_u32_u24_e32 v16, 36, v17
	v_dual_add_f32 v18, v7, v61 :: v_dual_lshlrev_b32 v17, 2, v19
	v_fma_f32 v7, -0.5, v11, v7
	v_sub_f32_e32 v11, v83, v68
	v_fmamk_f32 v19, v13, 0xbf5db3d7, v12
	v_fmac_f32_e32 v12, 0x3f5db3d7, v13
	v_add3_u32 v106, 0, v16, v17
	s_delay_alu instid0(VALU_DEP_4)
	v_dual_add_f32 v13, v18, v67 :: v_dual_fmamk_f32 v16, v11, 0xbf5db3d7, v7
	ds_store_2addr_b32 v94, v6, v20 offset1:3
	ds_store_b32 v94, v9 offset:24
	ds_store_2addr_b32 v95, v10, v19 offset1:3
	ds_store_b32 v95, v12 offset:24
	ds_store_2addr_b32 v106, v13, v16 offset1:3
	v_dual_add_f32 v6, v65, v64 :: v_dual_fmac_f32 v7, 0x3f5db3d7, v11
	v_mul_u32_u24_e32 v9, 36, v22
	v_dual_add_f32 v11, v8, v65 :: v_dual_lshlrev_b32 v10, 2, v24
	v_fmamk_f32 v92, v105, 0x3f5db3d7, v97
	s_delay_alu instid0(VALU_DEP_4) | instskip(SKIP_1) | instid1(VALU_DEP_4)
	v_dual_fmac_f32 v97, 0xbf5db3d7, v105 :: v_dual_fmac_f32 v8, -0.5, v6
	v_sub_f32_e32 v6, v84, v70
	v_add3_u32 v110, 0, v9, v10
	v_add_f32_e32 v9, v46, v59
	ds_store_b32 v106, v7 offset:24
	v_dual_add_f32 v7, v11, v64 :: v_dual_fmamk_f32 v10, v6, 0xbf5db3d7, v8
	v_sub_f32_e32 v45, v45, v74
	v_dual_fmac_f32 v8, 0x3f5db3d7, v6 :: v_dual_sub_f32 v69, v72, v69
	v_add_f32_e32 v11, v5, v46
	v_fmac_f32_e32 v5, -0.5, v9
	v_sub_f32_e32 v9, v73, v60
	ds_store_b32 v110, v8 offset:24
	v_dual_add_f32 v8, v15, v14 :: v_dual_sub_f32 v61, v61, v67
	v_mul_u32_u24_e32 v12, 36, v27
	v_lshlrev_b32_e32 v13, 2, v115
	ds_store_2addr_b32 v110, v7, v10 offset1:3
	v_fmamk_f32 v7, v9, 0xbf5db3d7, v5
	v_fmac_f32_e32 v5, 0x3f5db3d7, v9
	v_add_f32_e32 v9, v96, v15
	v_fma_f32 v96, -0.5, v8, v96
	v_add3_u32 v111, 0, v12, v13
	v_add_f32_e32 v6, v11, v59
	ds_store_2addr_b32 v111, v6, v7 offset1:3
	ds_store_b32 v111, v5 offset:24
	v_add_f32_e32 v112, v9, v14
	v_fmamk_f32 v114, v109, 0x3f5db3d7, v96
	v_fmac_f32_e32 v96, 0xbf5db3d7, v109
	global_wb scope:SCOPE_SE
	s_wait_dscnt 0x0
	s_barrier_signal -1
	s_barrier_wait -1
	global_inv scope:SCOPE_SE
	ds_load_b32 v38, v0 offset:6552
	ds_load_2addr_b32 v[13:14], v0 offset1:63
	ds_load_2addr_b32 v[5:6], v49 offset0:120 offset1:183
	ds_load_2addr_b32 v[15:16], v55 offset0:110 offset1:173
	ds_load_2addr_b32 v[19:20], v76 offset0:118 offset1:181
	ds_load_2addr_b32 v[11:12], v0 offset0:126 offset1:189
	ds_load_2addr_b32 v[21:22], v71 offset0:108 offset1:171
	ds_load_2addr_b32 v[23:24], v82 offset0:116 offset1:179
	ds_load_2addr_b32 v[9:10], v41 offset0:124 offset1:187
	ds_load_2addr_b32 v[17:18], v77 offset0:106 offset1:169
	ds_load_2addr_b32 v[30:31], v78 offset0:114 offset1:177
	ds_load_2addr_b32 v[7:8], v79 offset0:122 offset1:185
	ds_load_2addr_b32 v[28:29], v81 offset0:104 offset1:167
	ds_load_2addr_b32 v[26:27], v80 offset0:112 offset1:175
	global_wb scope:SCOPE_SE
	s_wait_dscnt 0x0
	s_barrier_signal -1
	s_barrier_wait -1
	global_inv scope:SCOPE_SE
	ds_store_2addr_b32 v100, v112, v114 offset1:3
	ds_store_b32 v100, v96 offset:24
	v_add_f32_e32 v96, v89, v108
	v_dual_add_f32 v100, v90, v104 :: v_dual_add_f32 v89, v36, v89
	v_sub_f32_e32 v102, v102, v103
	v_add_f32_e32 v90, v37, v90
	s_delay_alu instid0(VALU_DEP_4) | instskip(NEXT) | instid1(VALU_DEP_4)
	v_fma_f32 v36, -0.5, v96, v36
	v_dual_fmac_f32 v37, -0.5, v100 :: v_dual_sub_f32 v96, v98, v101
	v_add_f32_e32 v89, v89, v108
	v_sub_f32_e32 v64, v65, v64
	s_delay_alu instid0(VALU_DEP_4)
	v_dual_fmamk_f32 v98, v102, 0x3f5db3d7, v36 :: v_dual_add_f32 v65, v25, v73
	v_fmac_f32_e32 v36, 0xbf5db3d7, v102
	v_add_f32_e32 v90, v90, v104
	v_fmamk_f32 v100, v96, 0x3f5db3d7, v37
	ds_store_2addr_b32 v86, v87, v92 offset1:3
	ds_store_b32 v86, v97 offset:24
	ds_store_2addr_b32 v88, v89, v98 offset1:3
	ds_store_b32 v88, v36 offset:24
	ds_store_2addr_b32 v93, v90, v100 offset1:3
	v_add_f32_e32 v36, v91, v99
	v_sub_f32_e32 v46, v46, v59
	v_dual_add_f32 v86, v34, v91 :: v_dual_add_f32 v87, v85, v66
	v_add_f32_e32 v74, v35, v85
	s_delay_alu instid0(VALU_DEP_4) | instskip(NEXT) | instid1(VALU_DEP_2)
	v_fma_f32 v34, -0.5, v36, v34
	v_dual_fmac_f32 v35, -0.5, v87 :: v_dual_add_f32 v66, v74, v66
	s_delay_alu instid0(VALU_DEP_2) | instskip(SKIP_1) | instid1(VALU_DEP_3)
	v_fmamk_f32 v72, v45, 0x3f5db3d7, v34
	v_dual_fmac_f32 v34, 0xbf5db3d7, v45 :: v_dual_add_f32 v45, v83, v68
	v_dual_add_f32 v74, v32, v83 :: v_dual_fmamk_f32 v85, v69, 0x3f5db3d7, v35
	v_fmac_f32_e32 v35, 0xbf5db3d7, v69
	s_delay_alu instid0(VALU_DEP_3) | instskip(SKIP_1) | instid1(VALU_DEP_2)
	v_fma_f32 v32, -0.5, v45, v32
	v_add_f32_e32 v45, v33, v84
	v_fmamk_f32 v69, v61, 0x3f5db3d7, v32
	v_dual_fmac_f32 v32, 0xbf5db3d7, v61 :: v_dual_add_f32 v61, v73, v60
	v_fmac_f32_e32 v37, 0xbf5db3d7, v96
	s_delay_alu instid0(VALU_DEP_4) | instskip(NEXT) | instid1(VALU_DEP_3)
	v_add_f32_e32 v45, v45, v70
	v_dual_add_f32 v60, v65, v60 :: v_dual_fmac_f32 v25, -0.5, v61
	ds_store_b32 v93, v37 offset:24
	v_fmamk_f32 v61, v46, 0x3f5db3d7, v25
	v_fmac_f32_e32 v25, 0xbf5db3d7, v46
	v_mul_lo_u16 v46, v54, 57
	v_add_f32_e32 v36, v86, v99
	s_delay_alu instid0(VALU_DEP_2)
	v_lshrrev_b16 v123, 9, v46
	ds_store_2addr_b32 v94, v36, v72 offset1:3
	ds_store_b32 v94, v34 offset:24
	ds_store_2addr_b32 v95, v66, v85 offset1:3
	ds_store_b32 v95, v35 offset:24
	v_mul_lo_u16 v46, v123, 9
	s_delay_alu instid0(VALU_DEP_1) | instskip(NEXT) | instid1(VALU_DEP_1)
	v_sub_nc_u16 v46, v63, v46
	v_and_b32_e32 v127, 0xff, v46
	v_dual_add_f32 v67, v74, v68 :: v_dual_add_f32 v68, v84, v70
	s_delay_alu instid0(VALU_DEP_1) | instskip(SKIP_1) | instid1(VALU_DEP_2)
	v_fmac_f32_e32 v33, -0.5, v68
	v_mul_u32_u24_e32 v68, 0xe38f, v50
	v_fmamk_f32 v59, v64, 0x3f5db3d7, v33
	v_fmac_f32_e32 v33, 0xbf5db3d7, v64
	v_mul_u32_u24_e32 v64, 0xe38f, v42
	s_delay_alu instid0(VALU_DEP_4)
	v_lshrrev_b32_e32 v74, 19, v68
	ds_store_2addr_b32 v106, v67, v69 offset1:3
	ds_store_b32 v106, v32 offset:24
	ds_store_2addr_b32 v110, v45, v59 offset1:3
	ds_store_b32 v110, v33 offset:24
	;; [unrolled: 2-line block ×3, first 2 shown]
	global_wb scope:SCOPE_SE
	s_wait_dscnt 0x0
	v_lshrrev_b32_e32 v88, 19, v64
	v_mul_lo_u16 v37, v74, 9
	s_barrier_signal -1
	s_barrier_wait -1
	global_inv scope:SCOPE_SE
	v_mul_lo_u16 v35, v88, 9
	v_sub_nc_u16 v34, v40, v37
	v_mul_u32_u24_e32 v37, 0xe38f, v48
	v_mul_lo_u16 v60, v58, 57
	s_delay_alu instid0(VALU_DEP_4) | instskip(NEXT) | instid1(VALU_DEP_4)
	v_sub_nc_u16 v32, v39, v35
	v_and_b32_e32 v97, 0xffff, v34
	s_delay_alu instid0(VALU_DEP_4) | instskip(NEXT) | instid1(VALU_DEP_4)
	v_lshrrev_b32_e32 v99, 19, v37
	v_lshrrev_b16 v125, 9, v60
	s_delay_alu instid0(VALU_DEP_4) | instskip(NEXT) | instid1(VALU_DEP_4)
	v_and_b32_e32 v96, 0xffff, v32
	v_lshlrev_b32_e32 v25, 4, v97
	s_delay_alu instid0(VALU_DEP_4) | instskip(NEXT) | instid1(VALU_DEP_4)
	v_mul_lo_u16 v37, v99, 9
	v_mul_lo_u16 v61, v125, 9
	s_delay_alu instid0(VALU_DEP_4)
	v_lshlrev_b32_e32 v36, 4, v96
	s_clause 0x1
	global_load_b128 v[32:35], v25, s[4:5] offset:48
	global_load_b128 v[64:67], v36, s[4:5] offset:48
	v_mul_u32_u24_e32 v25, 0xe38f, v47
	v_sub_nc_u16 v37, v43, v37
	ds_load_2addr_b32 v[68:69], v78 offset0:114 offset1:177
	ds_load_2addr_b32 v[93:94], v81 offset0:104 offset1:167
	ds_load_2addr_b32 v[118:119], v55 offset0:110 offset1:173
	v_lshrrev_b32_e32 v25, 19, v25
	v_and_b32_e32 v101, 0xffff, v37
	v_mul_lo_u16 v37, v53, 57
	s_delay_alu instid0(VALU_DEP_3) | instskip(NEXT) | instid1(VALU_DEP_3)
	v_mul_lo_u16 v36, v25, 9
	v_lshlrev_b32_e32 v59, 4, v101
	s_delay_alu instid0(VALU_DEP_3) | instskip(NEXT) | instid1(VALU_DEP_3)
	v_lshrrev_b16 v121, 9, v37
	v_sub_nc_u16 v36, v44, v36
	global_load_b128 v[89:92], v59, s[4:5] offset:48
	v_and_b32_e32 v100, 0xffff, v36
	s_delay_alu instid0(VALU_DEP_1) | instskip(SKIP_2) | instid1(VALU_DEP_1)
	v_lshlrev_b32_e32 v36, 4, v100
	global_load_b128 v[84:87], v36, s[4:5] offset:48
	v_mul_u32_u24_e32 v36, 0xe38f, v52
	v_lshrrev_b32_e32 v120, 19, v36
	v_mul_lo_u16 v36, v57, 57
	s_delay_alu instid0(VALU_DEP_2) | instskip(NEXT) | instid1(VALU_DEP_2)
	v_mul_lo_u16 v45, v120, 9
	v_lshrrev_b16 v122, 9, v36
	v_mul_lo_u16 v36, v121, 9
	s_delay_alu instid0(VALU_DEP_3) | instskip(NEXT) | instid1(VALU_DEP_3)
	v_sub_nc_u16 v37, v51, v45
	v_mul_lo_u16 v45, v122, 9
	s_delay_alu instid0(VALU_DEP_3) | instskip(NEXT) | instid1(VALU_DEP_2)
	v_sub_nc_u16 v59, v62, v36
	v_sub_nc_u16 v45, v75, v45
	s_delay_alu instid0(VALU_DEP_2) | instskip(SKIP_1) | instid1(VALU_DEP_3)
	v_and_b32_e32 v126, 0xff, v59
	v_sub_nc_u16 v59, v56, v61
	v_and_b32_e32 v129, 0xff, v45
	s_delay_alu instid0(VALU_DEP_3)
	v_lshlrev_b32_e32 v46, 4, v126
	global_load_b128 v[106:109], v46, s[4:5] offset:48
	s_wait_loadcnt_dscnt 0x402
	v_mul_f32_e32 v73, v68, v33
	v_and_b32_e32 v124, 0xffff, v37
	v_mul_f32_e32 v33, v30, v33
	ds_load_2addr_b32 v[36:37], v77 offset0:106 offset1:169
	s_wait_loadcnt 0x3
	v_mul_f32_e32 v45, v69, v65
	v_dual_fmac_f32 v73, v30, v32 :: v_dual_lshlrev_b32 v30, 4, v129
	v_lshlrev_b32_e32 v60, 4, v124
	v_fma_f32 v83, v68, v32, -v33
	s_delay_alu instid0(VALU_DEP_4)
	v_fmac_f32_e32 v45, v31, v64
	global_load_b128 v[114:117], v30, s[4:5] offset:48
	v_and_b32_e32 v128, 0xff, v59
	v_lshlrev_b32_e32 v59, 4, v127
	s_clause 0x1
	global_load_b128 v[102:105], v60, s[4:5] offset:48
	global_load_b128 v[110:113], v59, s[4:5] offset:48
	v_lshlrev_b32_e32 v46, 4, v128
	s_wait_dscnt 0x0
	v_mul_f32_e32 v72, v37, v35
	v_mul_f32_e32 v35, v18, v35
	s_delay_alu instid0(VALU_DEP_2) | instskip(NEXT) | instid1(VALU_DEP_2)
	v_fmac_f32_e32 v72, v18, v34
	v_fma_f32 v61, v37, v34, -v35
	global_load_b128 v[32:35], v46, s[4:5] offset:48
	v_mul_f32_e32 v59, v31, v65
	ds_load_2addr_b32 v[30:31], v80 offset0:112 offset1:175
	v_mul_f32_e32 v18, v28, v67
	v_mul_f32_e32 v60, v93, v67
	ds_load_b32 v37, v0 offset:6552
	v_fma_f32 v67, v69, v64, -v59
	s_wait_loadcnt 0x5
	v_mul_f32_e32 v46, v94, v87
	v_fma_f32 v64, v93, v66, -v18
	v_mul_f32_e32 v18, v29, v87
	v_fmac_f32_e32 v60, v28, v66
	s_delay_alu instid0(VALU_DEP_4)
	v_fmac_f32_e32 v46, v29, v86
	ds_load_2addr_b32 v[28:29], v82 offset0:116 offset1:179
	v_fma_f32 v66, v94, v86, -v18
	v_mul_f32_e32 v18, v26, v85
	s_wait_dscnt 0x2
	v_mul_f32_e32 v59, v30, v85
	s_delay_alu instid0(VALU_DEP_2)
	v_fma_f32 v70, v30, v84, -v18
	v_mul_f32_e32 v65, v31, v90
	v_mul_f32_e32 v18, v27, v90
	s_wait_dscnt 0x1
	v_mul_f32_e32 v68, v37, v92
	v_fmac_f32_e32 v59, v26, v84
	v_fmac_f32_e32 v65, v27, v89
	ds_load_2addr_b32 v[26:27], v71 offset0:108 offset1:171
	v_fma_f32 v69, v31, v89, -v18
	ds_load_2addr_b32 v[30:31], v76 offset0:118 offset1:181
	v_mul_f32_e32 v18, v38, v92
	v_fmac_f32_e32 v68, v38, v91
	s_wait_loadcnt_dscnt 0x402
	v_mul_f32_e32 v89, v28, v107
	s_delay_alu instid0(VALU_DEP_3) | instskip(SKIP_1) | instid1(VALU_DEP_2)
	v_fma_f32 v38, v37, v91, -v18
	s_wait_loadcnt 0x2
	v_dual_fmac_f32 v89, v23, v106 :: v_dual_mul_f32 v84, v36, v105
	v_mul_f32_e32 v18, v17, v105
	s_wait_loadcnt_dscnt 0x101
	v_dual_mul_f32 v86, v29, v103 :: v_dual_mul_f32 v93, v26, v113
	s_wait_dscnt 0x0
	v_mul_f32_e32 v95, v31, v111
	v_fma_f32 v85, v36, v104, -v18
	s_delay_alu instid0(VALU_DEP_3) | instskip(NEXT) | instid1(VALU_DEP_3)
	v_fmac_f32_e32 v93, v21, v112
	v_dual_fmac_f32 v95, v20, v110 :: v_dual_fmac_f32 v84, v17, v104
	v_mul_f32_e32 v17, v24, v103
	v_fmac_f32_e32 v86, v24, v102
	v_mul_f32_e32 v24, v22, v109
	s_wait_loadcnt 0x0
	v_mul_f32_e32 v104, v30, v33
	v_fma_f32 v87, v29, v102, -v17
	ds_load_2addr_b32 v[17:18], v49 offset0:120 offset1:183
	v_fma_f32 v91, v27, v108, -v24
	v_mul_f32_e32 v90, v27, v109
	v_mul_f32_e32 v105, v119, v35
	v_fmac_f32_e32 v104, v19, v32
	v_lshlrev_b32_e32 v24, 2, v128
	s_delay_alu instid0(VALU_DEP_4) | instskip(SKIP_3) | instid1(VALU_DEP_3)
	v_fmac_f32_e32 v90, v22, v108
	v_mul_f32_e32 v36, v23, v107
	v_dual_mul_f32 v22, v21, v113 :: v_dual_mul_f32 v21, v20, v111
	v_dual_mul_f32 v20, v19, v33 :: v_dual_mul_f32 v19, v16, v35
	v_fma_f32 v92, v28, v106, -v36
	v_fmac_f32_e32 v105, v16, v34
	s_delay_alu instid0(VALU_DEP_4) | instskip(NEXT) | instid1(VALU_DEP_4)
	v_fma_f32 v98, v31, v110, -v21
	v_fma_f32 v106, v30, v32, -v20
	v_mul_f32_e32 v20, v118, v117
	v_and_b32_e32 v16, 0xffff, v122
	v_fma_f32 v107, v119, v34, -v19
	s_wait_dscnt 0x0
	v_mul_f32_e32 v21, v18, v115
	v_dual_fmac_f32 v20, v15, v116 :: v_dual_lshlrev_b32 v19, 2, v129
	v_mul_f32_e32 v15, v15, v117
	v_mul_u32_u24_e32 v16, 0x6c, v16
	s_delay_alu instid0(VALU_DEP_4)
	v_fmac_f32_e32 v21, v6, v114
	v_mul_f32_e32 v6, v6, v115
	v_fma_f32 v94, v26, v112, -v22
	v_fma_f32 v15, v118, v116, -v15
	v_add3_u32 v108, 0, v16, v19
	v_add_f32_e32 v22, v13, v21
	v_add_f32_e32 v23, v21, v20
	v_fma_f32 v6, v18, v114, -v6
	v_and_b32_e32 v18, 0xffff, v125
	s_delay_alu instid0(VALU_DEP_4) | instskip(NEXT) | instid1(VALU_DEP_4)
	v_dual_add_f32 v19, v104, v105 :: v_dual_add_f32 v16, v22, v20
	v_fma_f32 v13, -0.5, v23, v13
	s_delay_alu instid0(VALU_DEP_4)
	v_sub_f32_e32 v22, v6, v15
	v_add_f32_e32 v23, v14, v104
	v_mul_u32_u24_e32 v18, 0x6c, v18
	v_fmac_f32_e32 v14, -0.5, v19
	v_sub_f32_e32 v19, v106, v107
	v_fmamk_f32 v26, v22, 0xbf5db3d7, v13
	v_fmac_f32_e32 v13, 0x3f5db3d7, v22
	v_add3_u32 v109, 0, v18, v24
	v_add_f32_e32 v18, v23, v105
	v_fmamk_f32 v22, v19, 0xbf5db3d7, v14
	ds_load_2addr_b32 v[102:103], v0 offset1:63
	ds_load_2addr_b32 v[36:37], v0 offset0:126 offset1:189
	ds_load_2addr_b32 v[34:35], v41 offset0:124 offset1:187
	;; [unrolled: 1-line block ×3, first 2 shown]
	global_wb scope:SCOPE_SE
	s_wait_dscnt 0x0
	s_barrier_signal -1
	s_barrier_wait -1
	global_inv scope:SCOPE_SE
	ds_store_2addr_b32 v108, v16, v26 offset1:9
	v_and_b32_e32 v16, 0xffff, v123
	ds_store_b32 v108, v13 offset:72
	ds_store_2addr_b32 v109, v18, v22 offset1:9
	v_dual_add_f32 v13, v95, v93 :: v_dual_fmac_f32 v14, 0x3f5db3d7, v19
	v_lshlrev_b32_e32 v18, 2, v127
	v_mul_u32_u24_e32 v16, 0x6c, v16
	v_add_f32_e32 v19, v11, v95
	s_delay_alu instid0(VALU_DEP_4)
	v_fma_f32 v11, -0.5, v13, v11
	v_sub_f32_e32 v13, v98, v94
	ds_store_b32 v109, v14 offset:72
	v_add3_u32 v110, 0, v16, v18
	v_add_f32_e32 v14, v19, v93
	v_dual_add_f32 v113, v106, v107 :: v_dual_and_b32 v16, 0xffff, v121
	v_fmamk_f32 v18, v13, 0xbf5db3d7, v11
	v_fmac_f32_e32 v11, 0x3f5db3d7, v13
	v_add_f32_e32 v19, v89, v90
	v_add_f32_e32 v13, v12, v89
	v_mul_u32_u24_e32 v16, 0x6c, v16
	v_lshlrev_b32_e32 v22, 2, v126
	v_sub_f32_e32 v104, v104, v105
	v_fmac_f32_e32 v12, -0.5, v19
	v_sub_f32_e32 v19, v92, v91
	ds_store_2addr_b32 v110, v14, v18 offset1:9
	ds_store_b32 v110, v11 offset:72
	v_add3_u32 v111, 0, v16, v22
	v_add_f32_e32 v11, v13, v90
	v_mul_u32_u24_e32 v14, 0x6c, v120
	v_fmamk_f32 v13, v19, 0xbf5db3d7, v12
	v_dual_fmac_f32 v12, 0x3f5db3d7, v19 :: v_dual_sub_f32 v93, v95, v93
	v_dual_sub_f32 v89, v89, v90 :: v_dual_lshlrev_b32 v16, 2, v124
	v_dual_add_f32 v18, v9, v86 :: v_dual_add_f32 v19, v86, v84
	ds_store_2addr_b32 v111, v11, v13 offset1:9
	ds_store_b32 v111, v12 offset:72
	v_add_f32_e32 v13, v73, v72
	v_add3_u32 v112, 0, v14, v16
	v_mul_u32_u24_e32 v14, 0x6c, v74
	v_dual_add_f32 v11, v18, v84 :: v_dual_lshlrev_b32 v16, 2, v97
	v_fma_f32 v9, -0.5, v19, v9
	v_sub_f32_e32 v12, v87, v85
	v_add_f32_e32 v18, v10, v73
	v_dual_fmac_f32 v10, -0.5, v13 :: v_dual_add_f32 v13, v45, v60
	v_add3_u32 v97, 0, v14, v16
	v_sub_f32_e32 v84, v86, v84
	v_dual_sub_f32 v14, v83, v61 :: v_dual_fmamk_f32 v19, v12, 0xbf5db3d7, v9
	v_fmac_f32_e32 v9, 0x3f5db3d7, v12
	v_add_f32_e32 v12, v18, v72
	v_mul_u32_u24_e32 v16, 0x6c, v88
	v_lshlrev_b32_e32 v18, 2, v96
	v_add_f32_e32 v22, v7, v45
	v_fma_f32 v7, -0.5, v13, v7
	v_sub_f32_e32 v13, v67, v64
	v_fmamk_f32 v23, v14, 0xbf5db3d7, v10
	v_fmac_f32_e32 v10, 0x3f5db3d7, v14
	v_add3_u32 v88, 0, v16, v18
	v_add_f32_e32 v14, v22, v60
	v_fmamk_f32 v16, v13, 0xbf5db3d7, v7
	ds_store_2addr_b32 v112, v11, v19 offset1:9
	ds_store_b32 v112, v9 offset:72
	ds_store_2addr_b32 v97, v12, v23 offset1:9
	ds_store_b32 v97, v10 offset:72
	ds_store_2addr_b32 v88, v14, v16 offset1:9
	v_mul_u32_u24_e32 v10, 0x6c, v25
	v_lshlrev_b32_e32 v11, 2, v100
	v_add_f32_e32 v9, v59, v46
	v_dual_fmac_f32 v7, 0x3f5db3d7, v13 :: v_dual_add_f32 v12, v8, v59
	v_sub_f32_e32 v45, v45, v60
	s_delay_alu instid0(VALU_DEP_4)
	v_add3_u32 v96, 0, v10, v11
	v_add_f32_e32 v10, v65, v68
	ds_store_b32 v88, v7 offset:72
	v_dual_add_f32 v7, v12, v46 :: v_dual_add_f32 v12, v5, v65
	v_sub_f32_e32 v72, v73, v72
	v_dual_fmac_f32 v8, -0.5, v9 :: v_dual_sub_f32 v9, v70, v66
	v_fmac_f32_e32 v5, -0.5, v10
	v_sub_f32_e32 v65, v65, v68
	v_sub_f32_e32 v10, v69, v38
	s_delay_alu instid0(VALU_DEP_4) | instskip(SKIP_2) | instid1(VALU_DEP_4)
	v_dual_sub_f32 v46, v59, v46 :: v_dual_fmamk_f32 v11, v9, 0xbf5db3d7, v8
	v_fmac_f32_e32 v8, 0x3f5db3d7, v9
	v_mul_u32_u24_e32 v13, 0x6c, v99
	v_fmamk_f32 v9, v10, 0xbf5db3d7, v5
	v_fmac_f32_e32 v5, 0x3f5db3d7, v10
	v_dual_add_f32 v10, v102, v6 :: v_dual_add_f32 v59, v17, v69
	v_add_f32_e32 v6, v6, v15
	v_dual_sub_f32 v101, v21, v20 :: v_dual_lshlrev_b32 v14, 2, v101
	ds_store_2addr_b32 v96, v7, v11 offset1:9
	v_add_f32_e32 v7, v12, v68
	v_fma_f32 v102, -0.5, v6, v102
	v_add3_u32 v99, 0, v13, v14
	v_add_f32_e32 v100, v10, v15
	ds_store_b32 v96, v8 offset:72
	ds_store_2addr_b32 v99, v7, v9 offset1:9
	ds_store_b32 v99, v5 offset:72
	v_fmamk_f32 v114, v101, 0x3f5db3d7, v102
	v_dual_fmac_f32 v102, 0xbf5db3d7, v101 :: v_dual_add_f32 v101, v103, v106
	v_fmac_f32_e32 v103, -0.5, v113
	global_wb scope:SCOPE_SE
	s_wait_dscnt 0x0
	s_barrier_signal -1
	s_barrier_wait -1
	global_inv scope:SCOPE_SE
	ds_load_b32 v74, v0 offset:6552
	ds_load_2addr_b32 v[13:14], v0 offset1:63
	ds_load_2addr_b32 v[5:6], v49 offset0:120 offset1:183
	ds_load_2addr_b32 v[15:16], v55 offset0:110 offset1:173
	ds_load_2addr_b32 v[18:19], v76 offset0:118 offset1:181
	ds_load_2addr_b32 v[11:12], v0 offset0:126 offset1:189
	ds_load_2addr_b32 v[20:21], v71 offset0:108 offset1:171
	ds_load_2addr_b32 v[22:23], v82 offset0:116 offset1:179
	ds_load_2addr_b32 v[9:10], v41 offset0:124 offset1:187
	ds_load_2addr_b32 v[24:25], v77 offset0:106 offset1:169
	ds_load_2addr_b32 v[30:31], v78 offset0:114 offset1:177
	ds_load_2addr_b32 v[7:8], v79 offset0:122 offset1:185
	ds_load_2addr_b32 v[28:29], v81 offset0:104 offset1:167
	ds_load_2addr_b32 v[26:27], v80 offset0:112 offset1:175
	global_wb scope:SCOPE_SE
	s_wait_dscnt 0x0
	s_barrier_signal -1
	s_barrier_wait -1
	global_inv scope:SCOPE_SE
	ds_store_2addr_b32 v108, v100, v114 offset1:9
	ds_store_b32 v108, v102 offset:72
	v_add_f32_e32 v102, v98, v94
	v_dual_add_f32 v100, v101, v107 :: v_dual_fmamk_f32 v101, v104, 0x3f5db3d7, v103
	v_dual_fmac_f32 v103, 0xbf5db3d7, v104 :: v_dual_add_f32 v104, v92, v91
	v_add_f32_e32 v98, v36, v98
	s_delay_alu instid0(VALU_DEP_4) | instskip(SKIP_1) | instid1(VALU_DEP_3)
	v_fma_f32 v36, -0.5, v102, v36
	v_add_f32_e32 v92, v37, v92
	v_dual_fmac_f32 v37, -0.5, v104 :: v_dual_add_f32 v90, v98, v94
	s_delay_alu instid0(VALU_DEP_3) | instskip(NEXT) | instid1(VALU_DEP_3)
	v_fmamk_f32 v94, v93, 0x3f5db3d7, v36
	v_dual_fmac_f32 v36, 0xbf5db3d7, v93 :: v_dual_add_f32 v91, v92, v91
	s_delay_alu instid0(VALU_DEP_3)
	v_fmamk_f32 v92, v89, 0x3f5db3d7, v37
	ds_store_2addr_b32 v109, v100, v101 offset1:9
	ds_store_b32 v109, v103 offset:72
	ds_store_2addr_b32 v110, v90, v94 offset1:9
	ds_store_b32 v110, v36 offset:72
	ds_store_2addr_b32 v111, v91, v92 offset1:9
	v_dual_add_f32 v36, v87, v85 :: v_dual_add_f32 v87, v34, v87
	v_fmac_f32_e32 v37, 0xbf5db3d7, v89
	v_add_f32_e32 v89, v83, v61
	v_add_f32_e32 v83, v35, v83
	s_delay_alu instid0(VALU_DEP_4)
	v_fma_f32 v34, -0.5, v36, v34
	v_add_f32_e32 v36, v87, v85
	v_mul_u32_u24_e32 v85, 0x2f69, v50
	v_fmac_f32_e32 v35, -0.5, v89
	v_add_f32_e32 v61, v83, v61
	v_add_f32_e32 v83, v67, v64
	;; [unrolled: 1-line block ×3, first 2 shown]
	v_lshrrev_b32_e32 v85, 16, v85
	v_fmamk_f32 v73, v84, 0x3f5db3d7, v34
	v_fmac_f32_e32 v34, 0xbf5db3d7, v84
	v_fma_f32 v60, -0.5, v83, v32
	v_add_f32_e32 v64, v67, v64
	v_sub_nc_u16 v32, v40, v85
	v_dual_add_f32 v67, v33, v70 :: v_dual_fmamk_f32 v84, v72, 0x3f5db3d7, v35
	v_fmac_f32_e32 v35, 0xbf5db3d7, v72
	v_fmamk_f32 v72, v45, 0x3f5db3d7, v60
	s_delay_alu instid0(VALU_DEP_4) | instskip(SKIP_3) | instid1(VALU_DEP_4)
	v_lshrrev_b16 v32, 1, v32
	v_add_f32_e32 v70, v70, v66
	v_dual_fmac_f32 v60, 0xbf5db3d7, v45 :: v_dual_add_f32 v45, v67, v66
	v_add_f32_e32 v66, v69, v38
	v_add_nc_u16 v32, v32, v85
	v_add_f32_e32 v38, v59, v38
	v_fmac_f32_e32 v33, -0.5, v70
	ds_store_b32 v111, v37 offset:72
	ds_store_2addr_b32 v112, v36, v73 offset1:9
	ds_store_b32 v112, v34 offset:72
	v_fmac_f32_e32 v17, -0.5, v66
	v_lshrrev_b16 v32, 4, v32
	ds_store_2addr_b32 v97, v61, v84 offset1:9
	ds_store_b32 v97, v35 offset:72
	ds_store_2addr_b32 v88, v64, v72 offset1:9
	ds_store_b32 v88, v60 offset:72
	v_fmamk_f32 v66, v46, 0x3f5db3d7, v33
	v_fmac_f32_e32 v33, 0xbf5db3d7, v46
	v_fmamk_f32 v46, v65, 0x3f5db3d7, v17
	v_mul_lo_u16 v59, v32, 27
	v_fmac_f32_e32 v17, 0xbf5db3d7, v65
	ds_store_2addr_b32 v96, v45, v66 offset1:9
	ds_store_b32 v96, v33 offset:72
	ds_store_2addr_b32 v99, v38, v46 offset1:9
	ds_store_b32 v99, v17 offset:72
	global_wb scope:SCOPE_SE
	s_wait_dscnt 0x0
	v_sub_nc_u16 v34, v40, v59
	s_barrier_signal -1
	s_barrier_wait -1
	global_inv scope:SCOPE_SE
	v_mul_u32_u24_e32 v45, 0x2f69, v47
	v_and_b32_e32 v34, 0xffff, v34
	v_mul_u32_u24_e32 v59, 0x2f69, v48
	ds_load_2addr_b32 v[84:85], v77 offset0:106 offset1:169
	ds_load_b32 v65, v0 offset:6552
	v_lshrrev_b32_e32 v45, 16, v45
	v_lshlrev_b32_e32 v17, 4, v34
	v_lshrrev_b32_e32 v59, 16, v59
	s_delay_alu instid0(VALU_DEP_3) | instskip(SKIP_4) | instid1(VALU_DEP_3)
	v_sub_nc_u16 v46, v44, v45
	global_load_b128 v[35:38], v17, s[4:5] offset:192
	v_mul_u32_u24_e32 v17, 0x2f69, v42
	v_mul_u32_u24_e32 v42, 0x6523, v42
	v_lshrrev_b16 v46, 1, v46
	v_lshrrev_b32_e32 v17, 16, v17
	s_delay_alu instid0(VALU_DEP_2) | instskip(SKIP_1) | instid1(VALU_DEP_3)
	v_add_nc_u16 v45, v46, v45
	v_sub_nc_u16 v46, v43, v59
	v_sub_nc_u16 v33, v39, v17
	s_delay_alu instid0(VALU_DEP_3) | instskip(SKIP_1) | instid1(VALU_DEP_3)
	v_lshrrev_b16 v69, 4, v45
	v_mul_u32_u24_e32 v45, 0x2f69, v52
	v_lshrrev_b16 v33, 1, v33
	v_lshrrev_b16 v46, 1, v46
	s_delay_alu instid0(VALU_DEP_3) | instskip(NEXT) | instid1(VALU_DEP_3)
	v_lshrrev_b32_e32 v45, 16, v45
	v_add_nc_u16 v17, v33, v17
	s_delay_alu instid0(VALU_DEP_3) | instskip(NEXT) | instid1(VALU_DEP_2)
	v_add_nc_u16 v46, v46, v59
	v_lshrrev_b16 v17, 4, v17
	s_delay_alu instid0(VALU_DEP_2) | instskip(NEXT) | instid1(VALU_DEP_2)
	v_lshrrev_b16 v70, 4, v46
	v_mul_lo_u16 v33, v17, 27
	s_delay_alu instid0(VALU_DEP_1) | instskip(NEXT) | instid1(VALU_DEP_1)
	v_sub_nc_u16 v33, v39, v33
	v_and_b32_e32 v33, 0xffff, v33
	s_delay_alu instid0(VALU_DEP_1) | instskip(SKIP_2) | instid1(VALU_DEP_1)
	v_lshlrev_b32_e32 v60, 4, v33
	global_load_b128 v[88:91], v60, s[4:5] offset:192
	v_mul_lo_u16 v60, v69, 27
	v_sub_nc_u16 v59, v44, v60
	v_sub_nc_u16 v60, v51, v45
	s_delay_alu instid0(VALU_DEP_2) | instskip(NEXT) | instid1(VALU_DEP_2)
	v_and_b32_e32 v87, 0xffff, v59
	v_lshrrev_b16 v46, 1, v60
	v_mul_lo_u16 v59, v70, 27
	s_delay_alu instid0(VALU_DEP_2) | instskip(NEXT) | instid1(VALU_DEP_2)
	v_add_nc_u16 v45, v46, v45
	v_sub_nc_u16 v46, v43, v59
	v_mul_lo_u16 v59, v53, 19
	s_delay_alu instid0(VALU_DEP_3) | instskip(NEXT) | instid1(VALU_DEP_3)
	v_lshrrev_b16 v120, 4, v45
	v_and_b32_e32 v83, 0xffff, v46
	s_delay_alu instid0(VALU_DEP_3) | instskip(NEXT) | instid1(VALU_DEP_3)
	v_lshrrev_b16 v121, 9, v59
	v_mul_lo_u16 v45, v120, 27
	s_delay_alu instid0(VALU_DEP_3) | instskip(NEXT) | instid1(VALU_DEP_2)
	v_lshlrev_b32_e32 v46, 4, v83
	v_sub_nc_u16 v45, v51, v45
	global_load_b128 v[96:99], v46, s[4:5] offset:192
	v_and_b32_e32 v122, 0xffff, v45
	v_mul_lo_u16 v45, v54, 19
	s_delay_alu instid0(VALU_DEP_2) | instskip(NEXT) | instid1(VALU_DEP_2)
	v_lshlrev_b32_e32 v59, 4, v122
	v_lshrrev_b16 v123, 9, v45
	v_mul_lo_u16 v45, v58, 19
	global_load_b128 v[100:103], v59, s[4:5] offset:192
	v_mul_lo_u16 v46, v121, 27
	v_mul_lo_u16 v58, v123, 27
	v_lshrrev_b16 v124, 9, v45
	v_mul_lo_u16 v45, v57, 19
	s_delay_alu instid0(VALU_DEP_4) | instskip(NEXT) | instid1(VALU_DEP_3)
	v_sub_nc_u16 v46, v62, v46
	v_mul_lo_u16 v57, v124, 27
	s_delay_alu instid0(VALU_DEP_3) | instskip(NEXT) | instid1(VALU_DEP_3)
	v_lshrrev_b16 v126, 9, v45
	v_and_b32_e32 v125, 0xff, v46
	v_sub_nc_u16 v46, v63, v58
	s_delay_alu instid0(VALU_DEP_4) | instskip(NEXT) | instid1(VALU_DEP_2)
	v_sub_nc_u16 v45, v56, v57
	v_and_b32_e32 v127, 0xff, v46
	v_mul_lo_u16 v46, v126, 27
	s_delay_alu instid0(VALU_DEP_3) | instskip(NEXT) | instid1(VALU_DEP_3)
	v_and_b32_e32 v128, 0xff, v45
	v_lshlrev_b32_e32 v57, 4, v127
	s_delay_alu instid0(VALU_DEP_3) | instskip(NEXT) | instid1(VALU_DEP_3)
	v_sub_nc_u16 v45, v75, v46
	v_lshlrev_b32_e32 v46, 4, v128
	global_load_b128 v[108:111], v57, s[4:5] offset:192
	v_and_b32_e32 v129, 0xff, v45
	global_load_b128 v[112:115], v46, s[4:5] offset:192
	v_lshlrev_b32_e32 v58, 4, v125
	v_lshlrev_b32_e32 v46, 4, v129
	s_clause 0x1
	global_load_b128 v[104:107], v58, s[4:5] offset:192
	global_load_b128 v[116:119], v46, s[4:5] offset:192
	v_lshlrev_b32_e32 v60, 4, v87
	global_load_b128 v[92:95], v60, s[4:5] offset:192
	ds_load_2addr_b32 v[59:60], v78 offset0:114 offset1:177
	s_wait_loadcnt_dscnt 0x800
	v_mul_f32_e32 v58, v59, v36
	v_dual_mul_f32 v36, v30, v36 :: v_dual_mul_f32 v45, v85, v38
	v_mul_f32_e32 v38, v25, v38
	s_delay_alu instid0(VALU_DEP_3) | instskip(NEXT) | instid1(VALU_DEP_3)
	v_fmac_f32_e32 v58, v30, v35
	v_fma_f32 v68, v59, v35, -v36
	ds_load_2addr_b32 v[35:36], v81 offset0:104 offset1:167
	v_fmac_f32_e32 v45, v25, v37
	v_fma_f32 v38, v85, v37, -v38
	s_wait_loadcnt 0x7
	v_mul_f32_e32 v46, v60, v89
	v_mul_f32_e32 v25, v31, v89
	s_wait_dscnt 0x0
	v_mul_f32_e32 v59, v35, v91
	s_delay_alu instid0(VALU_DEP_3) | instskip(SKIP_4) | instid1(VALU_DEP_2)
	v_fmac_f32_e32 v46, v31, v88
	ds_load_2addr_b32 v[30:31], v80 offset0:112 offset1:175
	v_fma_f32 v66, v60, v88, -v25
	v_mul_f32_e32 v25, v28, v91
	v_fmac_f32_e32 v59, v28, v90
	v_fma_f32 v60, v35, v90, -v25
	s_wait_loadcnt_dscnt 0x600
	v_mul_f32_e32 v57, v31, v97
	v_mul_f32_e32 v61, v65, v99
	s_delay_alu instid0(VALU_DEP_2) | instskip(SKIP_1) | instid1(VALU_DEP_2)
	v_fmac_f32_e32 v57, v27, v96
	s_wait_loadcnt 0x5
	v_dual_fmac_f32 v61, v74, v98 :: v_dual_mul_f32 v72, v84, v103
	s_delay_alu instid0(VALU_DEP_1) | instskip(SKIP_4) | instid1(VALU_DEP_3)
	v_dual_mul_f32 v85, v23, v101 :: v_dual_fmac_f32 v72, v24, v102
	s_wait_loadcnt 0x0
	v_mul_f32_e32 v35, v36, v95
	v_mul_f32_e32 v25, v29, v95
	;; [unrolled: 1-line block ×3, first 2 shown]
	v_dual_mul_f32 v28, v26, v93 :: v_dual_fmac_f32 v35, v29, v94
	s_delay_alu instid0(VALU_DEP_3) | instskip(NEXT) | instid1(VALU_DEP_3)
	v_fma_f32 v36, v36, v94, -v25
	v_fmac_f32_e32 v37, v26, v92
	ds_load_2addr_b32 v[25:26], v82 offset0:116 offset1:179
	v_fma_f32 v64, v30, v92, -v28
	v_mul_f32_e32 v29, v27, v97
	ds_load_2addr_b32 v[27:28], v71 offset0:108 offset1:171
	v_mul_f32_e32 v30, v74, v99
	ds_load_2addr_b32 v[94:95], v55 offset0:110 offset1:173
	v_fma_f32 v67, v31, v96, -v29
	v_mul_f32_e32 v31, v24, v103
	v_fma_f32 v65, v65, v98, -v30
	ds_load_2addr_b32 v[29:30], v76 offset0:118 offset1:181
	v_fma_f32 v73, v84, v102, -v31
	s_wait_dscnt 0x3
	v_dual_mul_f32 v31, v21, v107 :: v_dual_mul_f32 v74, v26, v101
	v_fma_f32 v84, v26, v100, -v85
	s_wait_dscnt 0x2
	v_dual_mul_f32 v85, v25, v105 :: v_dual_mul_f32 v86, v28, v107
	v_mul_f32_e32 v90, v27, v111
	s_wait_dscnt 0x1
	v_dual_mul_f32 v26, v22, v105 :: v_dual_mul_f32 v103, v95, v115
	s_delay_alu instid0(VALU_DEP_3)
	v_dual_fmac_f32 v85, v22, v104 :: v_dual_fmac_f32 v86, v21, v106
	v_fmac_f32_e32 v74, v23, v100
	ds_load_2addr_b32 v[23:24], v49 offset0:120 offset1:183
	s_wait_dscnt 0x1
	v_dual_mul_f32 v92, v30, v109 :: v_dual_mul_f32 v21, v20, v111
	v_fmac_f32_e32 v90, v20, v110
	v_mul_f32_e32 v20, v19, v109
	v_fma_f32 v89, v25, v104, -v26
	s_delay_alu instid0(VALU_DEP_4) | instskip(SKIP_1) | instid1(VALU_DEP_4)
	v_dual_fmac_f32 v92, v19, v108 :: v_dual_mul_f32 v19, v18, v113
	v_mul_f32_e32 v102, v29, v113
	v_fma_f32 v93, v30, v108, -v20
	v_fmac_f32_e32 v103, v16, v114
	v_fma_f32 v88, v28, v106, -v31
	v_fma_f32 v104, v29, v112, -v19
	v_mul_f32_e32 v19, v94, v119
	v_fmac_f32_e32 v102, v18, v112
	v_mul_f32_e32 v18, v16, v115
	v_and_b32_e32 v16, 0xffff, v126
	v_fma_f32 v91, v27, v110, -v21
	v_fmac_f32_e32 v19, v15, v118
	s_wait_dscnt 0x0
	v_dual_mul_f32 v15, v15, v119 :: v_dual_mul_f32 v20, v24, v117
	v_fma_f32 v105, v95, v114, -v18
	v_mul_u32_u24_e32 v16, 0x144, v16
	v_lshlrev_b32_e32 v18, 2, v129
	s_delay_alu instid0(VALU_DEP_4)
	v_fma_f32 v15, v94, v118, -v15
	v_fmac_f32_e32 v20, v6, v116
	v_mul_f32_e32 v6, v6, v117
	ds_load_2addr_b32 v[94:95], v0 offset1:63
	v_add3_u32 v106, 0, v16, v18
	ds_load_2addr_b32 v[96:97], v0 offset0:126 offset1:189
	ds_load_2addr_b32 v[98:99], v41 offset0:124 offset1:187
	;; [unrolled: 1-line block ×3, first 2 shown]
	v_add_f32_e32 v22, v20, v19
	v_fma_f32 v6, v24, v116, -v6
	v_add_f32_e32 v21, v13, v20
	global_wb scope:SCOPE_SE
	s_wait_dscnt 0x0
	s_barrier_signal -1
	v_fma_f32 v13, -0.5, v22, v13
	v_sub_f32_e32 v18, v6, v15
	v_add_f32_e32 v16, v21, v19
	v_and_b32_e32 v22, 0xffff, v124
	s_barrier_wait -1
	global_inv scope:SCOPE_SE
	v_fmamk_f32 v21, v18, 0xbf5db3d7, v13
	v_add_f32_e32 v24, v14, v102
	v_fmac_f32_e32 v13, 0x3f5db3d7, v18
	v_add_f32_e32 v25, v11, v92
	ds_store_2addr_b32 v106, v16, v21 offset1:27
	v_add_f32_e32 v16, v102, v103
	v_mul_u32_u24_e32 v21, 0x144, v22
	v_lshlrev_b32_e32 v22, 2, v128
	v_add_f32_e32 v18, v24, v103
	v_lshlrev_b32_e32 v24, 2, v127
	v_fmac_f32_e32 v14, -0.5, v16
	v_and_b32_e32 v16, 0xffff, v123
	v_add3_u32 v107, 0, v21, v22
	v_add_f32_e32 v21, v92, v90
	v_sub_f32_e32 v22, v104, v105
	s_delay_alu instid0(VALU_DEP_4) | instskip(NEXT) | instid1(VALU_DEP_3)
	v_mul_u32_u24_e32 v16, 0x144, v16
	v_fma_f32 v11, -0.5, v21, v11
	s_delay_alu instid0(VALU_DEP_3) | instskip(SKIP_1) | instid1(VALU_DEP_4)
	v_dual_sub_f32 v21, v93, v91 :: v_dual_fmamk_f32 v26, v22, 0xbf5db3d7, v14
	v_fmac_f32_e32 v14, 0x3f5db3d7, v22
	v_add3_u32 v108, 0, v16, v24
	v_add_f32_e32 v16, v25, v90
	s_delay_alu instid0(VALU_DEP_4)
	v_fmamk_f32 v22, v21, 0xbf5db3d7, v11
	ds_store_b32 v106, v13 offset:216
	ds_store_2addr_b32 v107, v18, v26 offset1:27
	ds_store_b32 v107, v14 offset:216
	v_dual_add_f32 v14, v85, v86 :: v_dual_and_b32 v13, 0xffff, v121
	v_lshlrev_b32_e32 v18, 2, v125
	ds_store_2addr_b32 v108, v16, v22 offset1:27
	v_add_f32_e32 v16, v12, v85
	v_mul_u32_u24_e32 v13, 0x144, v13
	v_fmac_f32_e32 v12, -0.5, v14
	v_dual_sub_f32 v14, v89, v88 :: v_dual_fmac_f32 v11, 0x3f5db3d7, v21
	s_delay_alu instid0(VALU_DEP_3) | instskip(NEXT) | instid1(VALU_DEP_2)
	v_add3_u32 v109, 0, v13, v18
	v_dual_add_f32 v13, v16, v86 :: v_dual_fmamk_f32 v16, v14, 0xbf5db3d7, v12
	ds_store_b32 v108, v11 offset:216
	v_and_b32_e32 v11, 0xffff, v120
	v_fmac_f32_e32 v12, 0x3f5db3d7, v14
	v_lshlrev_b32_e32 v14, 2, v122
	ds_store_2addr_b32 v109, v13, v16 offset1:27
	v_add_f32_e32 v13, v74, v72
	v_mul_u32_u24_e32 v11, 0x144, v11
	v_add_f32_e32 v18, v9, v74
	ds_store_b32 v109, v12 offset:216
	v_and_b32_e32 v12, 0xffff, v32
	v_fma_f32 v9, -0.5, v13, v9
	v_add_f32_e32 v13, v58, v45
	v_add3_u32 v110, 0, v11, v14
	v_dual_add_f32 v11, v18, v72 :: v_dual_sub_f32 v14, v84, v73
	v_mul_u32_u24_e32 v12, 0x144, v12
	v_lshlrev_b32_e32 v18, 2, v34
	v_sub_f32_e32 v72, v74, v72
	v_add_f32_e32 v16, v10, v58
	v_dual_fmac_f32 v10, -0.5, v13 :: v_dual_sub_f32 v13, v68, v38
	v_fmamk_f32 v21, v14, 0xbf5db3d7, v9
	v_fmac_f32_e32 v9, 0x3f5db3d7, v14
	v_add3_u32 v111, 0, v12, v18
	v_add_f32_e32 v12, v16, v45
	v_and_b32_e32 v16, 0xffff, v17
	v_fmamk_f32 v14, v13, 0xbf5db3d7, v10
	ds_store_2addr_b32 v110, v11, v21 offset1:27
	v_add_f32_e32 v11, v46, v59
	ds_store_b32 v110, v9 offset:216
	ds_store_2addr_b32 v111, v12, v14 offset1:27
	v_mul_u32_u24_e32 v9, 0x144, v16
	v_lshlrev_b32_e32 v12, 2, v33
	v_fma_f32 v11, -0.5, v11, v7
	v_dual_add_f32 v7, v7, v46 :: v_dual_sub_f32 v14, v66, v60
	v_fmac_f32_e32 v10, 0x3f5db3d7, v13
	s_delay_alu instid0(VALU_DEP_4) | instskip(SKIP_1) | instid1(VALU_DEP_4)
	v_add3_u32 v112, 0, v9, v12
	v_and_b32_e32 v9, 0xffff, v69
	v_dual_add_f32 v7, v7, v59 :: v_dual_fmamk_f32 v12, v14, 0xbf5db3d7, v11
	ds_store_b32 v111, v10 offset:216
	v_add_f32_e32 v10, v37, v35
	v_mul_u32_u24_e32 v9, 0x144, v9
	v_lshlrev_b32_e32 v13, 2, v87
	v_fmac_f32_e32 v11, 0x3f5db3d7, v14
	ds_store_2addr_b32 v112, v7, v12 offset1:27
	v_dual_add_f32 v7, v8, v37 :: v_dual_fmac_f32 v8, -0.5, v10
	v_add3_u32 v69, 0, v9, v13
	v_sub_f32_e32 v9, v64, v36
	ds_store_b32 v112, v11 offset:216
	v_dual_add_f32 v11, v57, v61 :: v_dual_and_b32 v10, 0xffff, v70
	v_dual_add_f32 v7, v7, v35 :: v_dual_fmamk_f32 v12, v9, 0xbf5db3d7, v8
	v_add_f32_e32 v13, v5, v57
	s_delay_alu instid0(VALU_DEP_3)
	v_mul_u32_u24_e32 v10, 0x144, v10
	v_lshlrev_b32_e32 v14, 2, v83
	v_fmac_f32_e32 v5, -0.5, v11
	v_sub_f32_e32 v11, v67, v65
	ds_store_2addr_b32 v69, v7, v12 offset1:27
	v_fmac_f32_e32 v8, 0x3f5db3d7, v9
	v_add3_u32 v70, 0, v10, v14
	v_add_f32_e32 v7, v13, v61
	v_dual_fmamk_f32 v9, v11, 0xbf5db3d7, v5 :: v_dual_add_f32 v10, v94, v6
	v_add_f32_e32 v6, v6, v15
	ds_store_b32 v69, v8 offset:216
	v_add_f32_e32 v87, v104, v105
	ds_store_2addr_b32 v70, v7, v9 offset1:27
	v_add_f32_e32 v9, v10, v15
	v_sub_f32_e32 v10, v20, v19
	v_fma_f32 v83, -0.5, v6, v94
	v_dual_fmac_f32 v5, 0x3f5db3d7, v11 :: v_dual_add_f32 v104, v95, v104
	v_fmac_f32_e32 v95, -0.5, v87
	v_sub_f32_e32 v87, v102, v103
	s_delay_alu instid0(VALU_DEP_4)
	v_fmamk_f32 v94, v10, 0x3f5db3d7, v83
	ds_store_b32 v70, v5 offset:216
	global_wb scope:SCOPE_SE
	s_wait_dscnt 0x0
	s_barrier_signal -1
	s_barrier_wait -1
	global_inv scope:SCOPE_SE
	ds_load_2addr_b32 v[11:12], v0 offset1:63
	ds_load_b32 v34, v0 offset:6552
	ds_load_2addr_b32 v[5:6], v49 offset0:120 offset1:183
	ds_load_2addr_b32 v[32:33], v55 offset0:110 offset1:173
	;; [unrolled: 1-line block ×12, first 2 shown]
	global_wb scope:SCOPE_SE
	s_wait_dscnt 0x0
	s_barrier_signal -1
	s_barrier_wait -1
	global_inv scope:SCOPE_SE
	v_fmac_f32_e32 v83, 0xbf5db3d7, v10
	ds_store_2addr_b32 v106, v9, v94 offset1:27
	v_dual_add_f32 v9, v104, v105 :: v_dual_fmamk_f32 v94, v87, 0x3f5db3d7, v95
	v_add_f32_e32 v10, v93, v91
	ds_store_b32 v106, v83 offset:216
	v_add_f32_e32 v83, v96, v93
	v_sub_f32_e32 v90, v92, v90
	ds_store_2addr_b32 v107, v9, v94 offset1:27
	v_add_f32_e32 v9, v89, v88
	v_add_f32_e32 v89, v97, v89
	v_fma_f32 v10, -0.5, v10, v96
	v_sub_f32_e32 v46, v46, v59
	v_fmac_f32_e32 v95, 0xbf5db3d7, v87
	v_fmac_f32_e32 v97, -0.5, v9
	v_dual_sub_f32 v9, v85, v86 :: v_dual_add_f32 v86, v84, v73
	v_add_f32_e32 v83, v83, v91
	v_fmamk_f32 v87, v90, 0x3f5db3d7, v10
	s_delay_alu instid0(VALU_DEP_3)
	v_dual_add_f32 v84, v98, v84 :: v_dual_fmamk_f32 v85, v9, 0x3f5db3d7, v97
	v_fmac_f32_e32 v97, 0xbf5db3d7, v9
	v_dual_add_f32 v9, v68, v38 :: v_dual_add_f32 v68, v99, v68
	v_fma_f32 v74, -0.5, v86, v98
	v_fmac_f32_e32 v10, 0xbf5db3d7, v90
	ds_store_b32 v107, v95 offset:216
	ds_store_2addr_b32 v108, v83, v87 offset1:27
	v_fmac_f32_e32 v99, -0.5, v9
	v_sub_f32_e32 v9, v58, v45
	v_add_f32_e32 v58, v66, v60
	v_dual_add_f32 v66, v100, v66 :: v_dual_add_f32 v83, v89, v88
	v_add_f32_e32 v73, v84, v73
	s_delay_alu instid0(VALU_DEP_4) | instskip(NEXT) | instid1(VALU_DEP_4)
	v_fmamk_f32 v59, v9, 0x3f5db3d7, v99
	v_fma_f32 v58, -0.5, v58, v100
	v_fmac_f32_e32 v99, 0xbf5db3d7, v9
	v_add_f32_e32 v9, v64, v36
	v_add_f32_e32 v60, v66, v60
	;; [unrolled: 1-line block ×3, first 2 shown]
	v_fmamk_f32 v66, v46, 0x3f5db3d7, v58
	v_fmac_f32_e32 v58, 0xbf5db3d7, v46
	v_add_f32_e32 v46, v67, v65
	v_fmac_f32_e32 v101, -0.5, v9
	v_sub_f32_e32 v9, v37, v35
	v_dual_add_f32 v35, v23, v67 :: v_dual_add_f32 v36, v64, v36
	s_delay_alu instid0(VALU_DEP_4) | instskip(NEXT) | instid1(VALU_DEP_3)
	v_fmac_f32_e32 v23, -0.5, v46
	v_dual_fmamk_f32 v45, v72, 0x3f5db3d7, v74 :: v_dual_fmamk_f32 v46, v9, 0x3f5db3d7, v101
	v_sub_f32_e32 v37, v57, v61
	v_dual_fmac_f32 v101, 0xbf5db3d7, v9 :: v_dual_fmac_f32 v74, 0xbf5db3d7, v72
	v_add_f32_e32 v38, v68, v38
	ds_store_b32 v108, v10 offset:216
	ds_store_2addr_b32 v109, v83, v85 offset1:27
	ds_store_b32 v109, v97 offset:216
	ds_store_2addr_b32 v110, v73, v45 offset1:27
	;; [unrolled: 2-line block ×5, first 2 shown]
	ds_store_b32 v69, v101 offset:216
	v_subrev_nc_u32_e32 v36, 18, v75
	v_dual_mov_b32 v10, 0 :: v_dual_lshlrev_b32 v9, 1, v75
	v_add_f32_e32 v35, v35, v65
	v_fmamk_f32 v57, v37, 0x3f5db3d7, v23
	v_fmac_f32_e32 v23, 0xbf5db3d7, v37
	s_wait_alu 0xf1ff
	v_cndmask_b32_e64 v36, v36, v56, s0
	v_lshlrev_b64_e32 v[37:38], 3, v[9:10]
	ds_store_2addr_b32 v70, v35, v57 offset1:27
	ds_store_b32 v70, v23 offset:216
	v_mul_lo_u16 v23, 0xcb, v54
	v_lshlrev_b32_e32 v9, 1, v36
	global_wb scope:SCOPE_SE
	s_wait_dscnt 0x0
	v_add_co_u32 v45, s0, s4, v37
	v_lshrrev_b16 v37, 14, v23
	v_lshlrev_b64_e32 v[9:10], 3, v[9:10]
	s_wait_alu 0xf1ff
	v_add_co_ci_u32_e64 v46, s0, s5, v38, s0
	v_mul_lo_u16 v23, 0xcb, v53
	v_mul_lo_u16 v38, 0x51, v37
	s_barrier_signal -1
	v_add_co_u32 v9, s0, s4, v9
	s_delay_alu instid0(VALU_DEP_3)
	v_lshrrev_b16 v35, 14, v23
	s_wait_alu 0xf1ff
	v_add_co_ci_u32_e64 v10, s0, s5, v10, s0
	v_sub_nc_u16 v23, v63, v38
	v_mul_u32_u24_e32 v38, 0x6523, v52
	s_barrier_wait -1
	global_inv scope:SCOPE_SE
	global_load_b128 v[64:67], v[9:10], off offset:624
	v_and_b32_e32 v116, 0xff, v23
	v_lshrrev_b32_e32 v9, 21, v38
	v_mul_u32_u24_e32 v23, 0x6523, v50
	global_load_b128 v[57:60], v[45:46], off offset:624
	v_cmp_lt_u32_e64 s0, 17, v75
	v_lshlrev_b32_e32 v38, 4, v116
	v_mul_lo_u16 v9, 0x51, v9
	v_lshrrev_b32_e32 v23, 21, v23
	global_load_b128 v[92:95], v38, s[4:5] offset:624
	v_sub_nc_u16 v9, v51, v9
	v_mul_lo_u16 v38, 0x51, v23
	v_mul_lo_u16 v45, 0x51, v35
	v_mul_u32_u24_e32 v23, 0x3cc, v23
	s_delay_alu instid0(VALU_DEP_4) | instskip(NEXT) | instid1(VALU_DEP_4)
	v_and_b32_e32 v118, 0xffff, v9
	v_sub_nc_u16 v9, v40, v38
	v_lshrrev_b32_e32 v40, 21, v42
	v_mul_u32_u24_e32 v38, 0x6523, v47
	v_sub_nc_u16 v10, v62, v45
	s_delay_alu instid0(VALU_DEP_4) | instskip(NEXT) | instid1(VALU_DEP_4)
	v_and_b32_e32 v119, 0xffff, v9
	v_mul_lo_u16 v9, 0x51, v40
	s_delay_alu instid0(VALU_DEP_4) | instskip(SKIP_2) | instid1(VALU_DEP_4)
	v_lshrrev_b32_e32 v120, 21, v38
	v_mul_u32_u24_e32 v38, 0x6523, v48
	v_and_b32_e32 v117, 0xff, v10
	v_sub_nc_u16 v9, v39, v9
	s_delay_alu instid0(VALU_DEP_2) | instskip(NEXT) | instid1(VALU_DEP_2)
	v_lshlrev_b32_e32 v10, 4, v117
	v_and_b32_e32 v121, 0xffff, v9
	v_lshrrev_b32_e32 v9, 21, v38
	global_load_b128 v[51:54], v10, s[4:5] offset:624
	v_lshlrev_b32_e32 v38, 4, v121
	v_mul_lo_u16 v9, 0x51, v9
	global_load_b128 v[104:107], v38, s[4:5] offset:624
	v_sub_nc_u16 v9, v43, v9
	s_delay_alu instid0(VALU_DEP_1) | instskip(NEXT) | instid1(VALU_DEP_1)
	v_and_b32_e32 v123, 0xffff, v9
	v_lshlrev_b32_e32 v9, 4, v123
	global_load_b128 v[112:115], v9, s[4:5] offset:624
	v_lshlrev_b32_e32 v10, 4, v118
	global_load_b128 v[96:99], v10, s[4:5] offset:624
	v_lshlrev_b32_e32 v10, 4, v119
	global_load_b128 v[100:103], v10, s[4:5] offset:624
	v_mul_lo_u16 v10, 0x51, v120
	s_delay_alu instid0(VALU_DEP_1) | instskip(NEXT) | instid1(VALU_DEP_1)
	v_sub_nc_u16 v10, v44, v10
	v_and_b32_e32 v122, 0xffff, v10
	s_delay_alu instid0(VALU_DEP_1)
	v_lshlrev_b32_e32 v10, 4, v122
	global_load_b128 v[108:111], v10, s[4:5] offset:624
	ds_load_2addr_b32 v[9:10], v49 offset0:120 offset1:183
	ds_load_2addr_b32 v[38:39], v55 offset0:110 offset1:173
	;; [unrolled: 1-line block ×5, first 2 shown]
	s_wait_loadcnt_dscnt 0x704
	v_mul_f32_e32 v83, v10, v58
	v_mul_f32_e32 v46, v6, v58
	s_wait_dscnt 0x3
	v_mul_f32_e32 v84, v38, v60
	s_wait_dscnt 0x2
	v_dual_mul_f32 v58, v42, v65 :: v_dual_mul_f32 v47, v32, v60
	v_fmac_f32_e32 v83, v6, v57
	v_fma_f32 v88, v10, v57, -v46
	v_mul_f32_e32 v57, v39, v67
	s_wait_loadcnt 0x6
	v_dual_mul_f32 v6, v33, v67 :: v_dual_mul_f32 v61, v43, v93
	v_fmac_f32_e32 v84, v32, v59
	s_delay_alu instid0(VALU_DEP_3) | instskip(NEXT) | instid1(VALU_DEP_3)
	v_dual_mul_f32 v10, v30, v65 :: v_dual_fmac_f32 v57, v33, v66
	v_fma_f32 v67, v39, v66, -v6
	v_fmac_f32_e32 v58, v30, v64
	v_mul_f32_e32 v6, v31, v93
	ds_load_2addr_b32 v[32:33], v77 offset0:106 offset1:169
	v_fmac_f32_e32 v61, v31, v92
	ds_load_2addr_b32 v[30:31], v78 offset0:114 offset1:177
	v_fma_f32 v69, v38, v59, -v47
	v_fma_f32 v91, v42, v64, -v10
	s_wait_dscnt 0x3
	v_mul_f32_e32 v70, v44, v95
	v_mul_f32_e32 v10, v28, v95
	v_fma_f32 v82, v43, v92, -v6
                                        ; implicit-def: $vgpr64
	s_delay_alu instid0(VALU_DEP_3) | instskip(NEXT) | instid1(VALU_DEP_3)
	v_fmac_f32_e32 v70, v28, v94
	v_fma_f32 v73, v44, v94, -v10
	s_wait_loadcnt 0x5
	v_mul_f32_e32 v46, v45, v54
	s_wait_dscnt 0x2
	v_mul_f32_e32 v50, v85, v52
	v_mul_f32_e32 v6, v29, v54
	;; [unrolled: 1-line block ×3, first 2 shown]
	v_fmac_f32_e32 v46, v29, v53
	ds_load_2addr_b32 v[28:29], v81 offset0:104 offset1:167
	v_fmac_f32_e32 v50, v26, v51
	v_fma_f32 v60, v45, v53, -v6
	v_fma_f32 v81, v85, v51, -v10
	s_wait_loadcnt_dscnt 0x401
	v_mul_f32_e32 v56, v31, v105
	s_wait_dscnt 0x0
	s_delay_alu instid0(VALU_DEP_1)
	v_dual_fmac_f32 v56, v22, v104 :: v_dual_mul_f32 v59, v28, v107
	s_wait_loadcnt 0x2
	v_mul_f32_e32 v47, v86, v97
	v_mul_f32_e32 v38, v27, v97
	;; [unrolled: 1-line block ×3, first 2 shown]
	v_dual_mul_f32 v66, v32, v99 :: v_dual_fmac_f32 v59, v19, v106
	s_delay_alu instid0(VALU_DEP_4)
	v_fmac_f32_e32 v47, v27, v96
	ds_load_2addr_b32 v[26:27], v80 offset0:112 offset1:175
	s_wait_loadcnt 0x1
	v_mul_f32_e32 v52, v30, v101
	v_fma_f32 v85, v32, v98, -v6
	v_mul_f32_e32 v6, v21, v101
	v_mul_f32_e32 v10, v25, v103
	v_fma_f32 v68, v86, v96, -v38
	v_fmac_f32_e32 v52, v21, v100
	ds_load_b32 v21, v0 offset:6552
	v_fma_f32 v87, v30, v100, -v6
	v_mul_f32_e32 v6, v19, v107
	v_fma_f32 v54, v33, v102, -v10
	v_mul_f32_e32 v10, v22, v105
	v_mul_f32_e32 v44, v33, v103
	v_fmac_f32_e32 v66, v24, v98
	v_fma_f32 v74, v28, v106, -v6
	v_sub_f32_e32 v28, v91, v67
	v_fma_f32 v72, v31, v104, -v10
	v_fmac_f32_e32 v44, v25, v102
	ds_load_2addr_b32 v[24:25], v0 offset1:63
	ds_load_2addr_b32 v[38:39], v41 offset0:124 offset1:187
	s_wait_dscnt 0x3
	v_mul_f32_e32 v53, v27, v113
	s_wait_loadcnt 0x0
	v_mul_f32_e32 v48, v26, v109
	v_mul_f32_e32 v6, v17, v109
	;; [unrolled: 1-line block ×4, first 2 shown]
	v_fmac_f32_e32 v53, v18, v112
	v_fmac_f32_e32 v48, v17, v108
	v_fma_f32 v17, v26, v108, -v6
	v_mul_f32_e32 v6, v18, v113
	v_fma_f32 v51, v29, v110, -v10
	v_add_f32_e32 v10, v83, v84
	s_wait_dscnt 0x2
	v_dual_mul_f32 v86, v21, v115 :: v_dual_fmac_f32 v45, v20, v110
	v_fma_f32 v89, v27, v112, -v6
	v_mul_f32_e32 v6, v34, v115
	v_fma_f32 v20, -0.5, v10, v11
	v_sub_f32_e32 v10, v88, v69
	v_dual_add_f32 v26, v12, v58 :: v_dual_lshlrev_b32 v27, 2, v36
	s_delay_alu instid0(VALU_DEP_4) | instskip(SKIP_1) | instid1(VALU_DEP_4)
	v_fma_f32 v90, v21, v114, -v6
	v_dual_add_f32 v6, v58, v57 :: v_dual_add_f32 v21, v11, v83
	v_fmamk_f32 v22, v10, 0xbf5db3d7, v20
	v_fmac_f32_e32 v20, 0x3f5db3d7, v10
	v_add_f32_e32 v26, v26, v57
	s_delay_alu instid0(VALU_DEP_4)
	v_fmac_f32_e32 v12, -0.5, v6
	v_add_f32_e32 v6, v21, v84
	s_wait_alu 0xf1ff
	v_cndmask_b32_e64 v21, 0, 0x3cc, s0
	ds_load_2addr_b32 v[18:19], v0 offset0:126 offset1:189
	ds_load_2addr_b32 v[10:11], v79 offset0:122 offset1:185
	global_wb scope:SCOPE_SE
	s_wait_dscnt 0x0
	s_barrier_signal -1
	v_add3_u32 v92, 0, v21, v27
	v_fmamk_f32 v21, v28, 0xbf5db3d7, v12
	s_barrier_wait -1
	global_inv scope:SCOPE_SE
	v_add_f32_e32 v27, v61, v70
	ds_store_2addr_b32 v0, v6, v22 offset1:81
	ds_store_b32 v0, v20 offset:648
	ds_store_2addr_b32 v92, v26, v21 offset1:81
	v_add_f32_e32 v6, v50, v46
	v_and_b32_e32 v22, 0xffff, v37
	v_add_f32_e32 v26, v16, v50
	v_fma_f32 v20, -0.5, v27, v15
	v_add_f32_e32 v27, v47, v66
	v_fmac_f32_e32 v16, -0.5, v6
	v_add_f32_e32 v6, v15, v61
	v_mul_u32_u24_e32 v15, 0x3cc, v22
	v_dual_sub_f32 v21, v82, v73 :: v_dual_lshlrev_b32 v22, 2, v116
	v_fmac_f32_e32 v12, 0x3f5db3d7, v28
	s_delay_alu instid0(VALU_DEP_4) | instskip(SKIP_1) | instid1(VALU_DEP_4)
	v_add_f32_e32 v6, v6, v70
	v_lshlrev_b32_e32 v28, 2, v117
	v_add3_u32 v93, 0, v15, v22
	v_fma_f32 v22, -0.5, v27, v13
	v_and_b32_e32 v27, 0xffff, v35
	ds_store_b32 v92, v12 offset:648
	v_fmamk_f32 v12, v21, 0xbf5db3d7, v20
	v_dual_sub_f32 v15, v81, v60 :: v_dual_fmac_f32 v86, v34, v114
	v_mul_u32_u24_e32 v27, 0x3cc, v27
	v_fmac_f32_e32 v20, 0x3f5db3d7, v21
	ds_store_2addr_b32 v93, v6, v12 offset1:81
	v_sub_f32_e32 v6, v68, v85
	v_dual_add_f32 v21, v52, v44 :: v_dual_fmamk_f32 v12, v15, 0xbf5db3d7, v16
	v_fmac_f32_e32 v16, 0x3f5db3d7, v15
	v_add_f32_e32 v30, v56, v59
	v_add3_u32 v94, 0, v27, v28
	v_fmamk_f32 v29, v6, 0xbf5db3d7, v22
	v_fmac_f32_e32 v22, 0x3f5db3d7, v6
	v_add_f32_e32 v6, v26, v46
	v_dual_add_f32 v15, v14, v52 :: v_dual_fmac_f32 v14, -0.5, v21
	v_sub_f32_e32 v21, v87, v54
	v_fma_f32 v26, -0.5, v30, v7
	v_sub_f32_e32 v27, v72, v74
	ds_store_b32 v93, v20 offset:648
	ds_store_2addr_b32 v94, v6, v12 offset1:81
	v_add_f32_e32 v6, v13, v47
	v_lshl_add_u32 v95, v118, 2, 0
	v_add_f32_e32 v12, v48, v45
	ds_store_b32 v94, v16 offset:648
	v_add_f32_e32 v16, v53, v86
	v_fmamk_f32 v31, v21, 0xbf5db3d7, v14
	v_fmac_f32_e32 v14, 0x3f5db3d7, v21
	v_fmamk_f32 v20, v27, 0xbf5db3d7, v26
	v_fmac_f32_e32 v26, 0x3f5db3d7, v27
	v_add_f32_e32 v6, v6, v66
	v_dual_add_f32 v13, v8, v48 :: v_dual_add_nc_u32 v96, 0xa00, v95
	v_dual_fmac_f32 v8, -0.5, v12 :: v_dual_sub_f32 v21, v17, v51
	v_add_f32_e32 v27, v5, v53
	v_dual_fmac_f32 v5, -0.5, v16 :: v_dual_sub_f32 v16, v89, v90
	v_lshlrev_b32_e32 v28, 2, v119
	ds_store_2addr_b32 v96, v6, v29 offset0:89 offset1:170
	v_add_f32_e32 v12, v13, v45
	v_fmamk_f32 v13, v21, 0xbf5db3d7, v8
	v_fmac_f32_e32 v8, 0x3f5db3d7, v21
	v_fmamk_f32 v6, v16, 0xbf5db3d7, v5
	v_fmac_f32_e32 v5, 0x3f5db3d7, v16
	v_add_f32_e32 v7, v7, v56
	v_add_f32_e32 v16, v15, v44
	v_mul_u32_u24_e32 v15, 0x3cc, v40
	v_lshlrev_b32_e32 v21, 2, v121
	v_add3_u32 v97, 0, v23, v28
	ds_store_b32 v95, v22 offset:3564
	v_mul_u32_u24_e32 v22, 0x3cc, v120
	v_lshlrev_b32_e32 v23, 2, v122
	v_lshl_add_u32 v98, v123, 2, 0
	v_add_f32_e32 v7, v7, v59
	v_add3_u32 v99, 0, v15, v21
	v_add_f32_e32 v15, v27, v86
	v_add3_u32 v100, 0, v22, v23
	v_add_nc_u32_e32 v101, 0x1600, v98
	ds_store_2addr_b32 v97, v16, v31 offset1:81
	ds_store_b32 v97, v14 offset:648
	ds_store_2addr_b32 v99, v7, v20 offset1:81
	ds_store_b32 v99, v26 offset:648
	;; [unrolled: 2-line block ×3, first 2 shown]
	ds_store_2addr_b32 v101, v15, v6 offset0:50 offset1:131
	ds_store_b32 v98, v5 offset:6480
	global_wb scope:SCOPE_SE
	s_wait_dscnt 0x0
	s_barrier_signal -1
	s_barrier_wait -1
	global_inv scope:SCOPE_SE
	ds_load_2addr_b32 v[20:21], v0 offset1:63
	ds_load_2addr_b32 v[22:23], v0 offset0:126 offset1:243
	ds_load_2addr_b32 v[26:27], v49 offset0:102 offset1:165
	ds_load_b32 v65, v0 offset:6336
	ds_load_2addr_b32 v[40:41], v76 offset0:100 offset1:217
	ds_load_2addr_b32 v[28:29], v80 offset0:76 offset1:139
	;; [unrolled: 1-line block ×7, first 2 shown]
	v_cmp_gt_u32_e64 s0, 54, v75
	s_delay_alu instid0(VALU_DEP_1)
	s_and_saveexec_b32 s1, s0
	s_cbranch_execz .LBB0_15
; %bb.14:
	v_add_nc_u32_e32 v5, 0xa80, v0
	v_add_nc_u32_e32 v8, 0x2e0, v0
	ds_load_2addr_b32 v[14:15], v5 offset0:3 offset1:246
	ds_load_2addr_b32 v[6:7], v71 offset0:9 offset1:252
	ds_load_b32 v64, v0 offset:6588
	ds_load_2addr_b32 v[12:13], v8 offset0:5 offset1:248
	s_wait_dscnt 0x2
	v_dual_mov_b32 v8, v14 :: v_dual_mov_b32 v5, v7
.LBB0_15:
	s_wait_alu 0xfffe
	s_or_b32 exec_lo, exec_lo, s1
	v_dual_add_f32 v7, v88, v69 :: v_dual_sub_f32 v16, v83, v84
	v_dual_add_f32 v14, v24, v88 :: v_dual_add_f32 v83, v91, v67
	v_add_f32_e32 v84, v82, v73
	s_delay_alu instid0(VALU_DEP_3) | instskip(SKIP_1) | instid1(VALU_DEP_4)
	v_fma_f32 v7, -0.5, v7, v24
	v_add_f32_e32 v24, v25, v91
	v_dual_add_f32 v14, v14, v69 :: v_dual_fmac_f32 v25, -0.5, v83
	global_wb scope:SCOPE_SE
	s_wait_dscnt 0x0
	v_fmamk_f32 v69, v16, 0x3f5db3d7, v7
	v_dual_fmac_f32 v7, 0xbf5db3d7, v16 :: v_dual_sub_f32 v16, v58, v57
	v_dual_add_f32 v24, v24, v67 :: v_dual_add_f32 v57, v18, v82
	v_fma_f32 v58, -0.5, v84, v18
	s_delay_alu instid0(VALU_DEP_3) | instskip(SKIP_1) | instid1(VALU_DEP_2)
	v_dual_sub_f32 v18, v61, v70 :: v_dual_fmamk_f32 v61, v16, 0x3f5db3d7, v25
	v_dual_fmac_f32 v25, 0xbf5db3d7, v16 :: v_dual_add_f32 v70, v19, v81
	v_dual_add_f32 v16, v81, v60 :: v_dual_fmamk_f32 v67, v18, 0x3f5db3d7, v58
	v_dual_add_f32 v57, v57, v73 :: v_dual_fmac_f32 v58, 0xbf5db3d7, v18
	s_delay_alu instid0(VALU_DEP_2) | instskip(SKIP_3) | instid1(VALU_DEP_4)
	v_dual_add_f32 v18, v68, v85 :: v_dual_fmac_f32 v19, -0.5, v16
	v_sub_f32_e32 v16, v50, v46
	v_add_f32_e32 v50, v38, v68
	v_add_f32_e32 v46, v70, v60
	v_fma_f32 v38, -0.5, v18, v38
	s_delay_alu instid0(VALU_DEP_4) | instskip(SKIP_2) | instid1(VALU_DEP_3)
	v_dual_sub_f32 v18, v47, v66 :: v_dual_fmamk_f32 v47, v16, 0x3f5db3d7, v19
	v_dual_fmac_f32 v19, 0xbf5db3d7, v16 :: v_dual_add_f32 v16, v87, v54
	v_add_f32_e32 v66, v39, v87
	v_fmamk_f32 v60, v18, 0x3f5db3d7, v38
	v_fmac_f32_e32 v38, 0xbf5db3d7, v18
	s_delay_alu instid0(VALU_DEP_4) | instskip(SKIP_3) | instid1(VALU_DEP_3)
	v_dual_add_f32 v18, v72, v74 :: v_dual_fmac_f32 v39, -0.5, v16
	v_sub_f32_e32 v16, v52, v44
	v_add_f32_e32 v44, v66, v54
	s_barrier_signal -1
	v_fma_f32 v54, -0.5, v18, v10
	v_sub_f32_e32 v18, v48, v45
	v_add_f32_e32 v52, v10, v72
	v_sub_f32_e32 v10, v56, v59
	v_fmamk_f32 v56, v16, 0x3f5db3d7, v39
	v_dual_fmac_f32 v39, 0xbf5db3d7, v16 :: v_dual_add_f32 v16, v17, v51
	v_add_f32_e32 v45, v9, v89
	v_add_f32_e32 v50, v50, v85
	v_fmamk_f32 v59, v10, 0x3f5db3d7, v54
	v_fmac_f32_e32 v54, 0xbf5db3d7, v10
	v_dual_add_f32 v10, v89, v90 :: v_dual_add_f32 v17, v11, v17
	v_dual_fmac_f32 v11, -0.5, v16 :: v_dual_sub_f32 v48, v53, v86
	s_barrier_wait -1
	s_delay_alu instid0(VALU_DEP_2) | instskip(NEXT) | instid1(VALU_DEP_2)
	v_dual_fmac_f32 v9, -0.5, v10 :: v_dual_add_f32 v16, v17, v51
	v_fmamk_f32 v17, v18, 0x3f5db3d7, v11
	v_fmac_f32_e32 v11, 0xbf5db3d7, v18
	v_add_f32_e32 v52, v52, v74
	v_add_f32_e32 v10, v45, v90
	v_fmamk_f32 v18, v48, 0x3f5db3d7, v9
	v_fmac_f32_e32 v9, 0xbf5db3d7, v48
	global_inv scope:SCOPE_SE
	ds_store_2addr_b32 v0, v14, v69 offset1:81
	ds_store_b32 v0, v7 offset:648
	ds_store_2addr_b32 v92, v24, v61 offset1:81
	ds_store_b32 v92, v25 offset:648
	ds_store_2addr_b32 v93, v57, v67 offset1:81
	ds_store_b32 v93, v58 offset:648
	ds_store_2addr_b32 v94, v46, v47 offset1:81
	ds_store_b32 v94, v19 offset:648
	ds_store_2addr_b32 v96, v50, v60 offset0:89 offset1:170
	ds_store_b32 v95, v38 offset:3564
	ds_store_2addr_b32 v97, v44, v56 offset1:81
	ds_store_b32 v97, v39 offset:648
	ds_store_2addr_b32 v99, v52, v59 offset1:81
	;; [unrolled: 2-line block ×3, first 2 shown]
	ds_store_b32 v100, v11 offset:648
	ds_store_2addr_b32 v101, v10, v18 offset0:50 offset1:131
	ds_store_b32 v98, v9 offset:6480
	global_wb scope:SCOPE_SE
	s_wait_dscnt 0x0
	s_barrier_signal -1
	s_barrier_wait -1
	global_inv scope:SCOPE_SE
	ds_load_2addr_b32 v[38:39], v0 offset1:63
	ds_load_2addr_b32 v[44:45], v0 offset0:126 offset1:243
	ds_load_2addr_b32 v[46:47], v49 offset0:102 offset1:165
	;; [unrolled: 1-line block ×9, first 2 shown]
	ds_load_b32 v14, v0 offset:6336
                                        ; implicit-def: $vgpr7
	s_and_saveexec_b32 s1, s0
	s_cbranch_execz .LBB0_17
; %bb.16:
	v_add_nc_u32_e32 v7, 0xa80, v0
	v_add_nc_u32_e32 v11, 0x1200, v0
	;; [unrolled: 1-line block ×3, first 2 shown]
	ds_load_2addr_b32 v[9:10], v7 offset0:3 offset1:246
	ds_load_2addr_b32 v[18:19], v11 offset0:9 offset1:252
	ds_load_b32 v7, v0 offset:6588
	ds_load_2addr_b32 v[16:17], v16 offset0:5 offset1:248
	s_wait_dscnt 0x3
	v_mov_b32_e32 v11, v9
	s_wait_dscnt 0x2
	v_mov_b32_e32 v9, v19
.LBB0_17:
	s_wait_alu 0xfffe
	s_or_b32 exec_lo, exec_lo, s1
	s_and_saveexec_b32 s1, vcc_lo
	s_cbranch_execz .LBB0_20
; %bb.18:
	v_mul_u32_u24_e32 v0, 6, v63
	v_mad_u32_u24 v24, v63, 6, 0xfffffe86
	v_mul_u32_u24_e32 v19, 6, v75
	v_mul_lo_u32 v63, s3, v3
	v_mul_lo_u32 v74, s2, v4
	v_dual_mov_b32 v25, 0 :: v_dual_lshlrev_b32 v0, 3, v0
	v_mad_co_u64_u32 v[3:4], null, s2, v3, 0
	s_clause 0x2
	global_load_b128 v[66:69], v0, s[4:5] offset:1920
	global_load_b128 v[70:73], v0, s[4:5] offset:1952
	;; [unrolled: 1-line block ×3, first 2 shown]
	v_lshlrev_b64_e32 v[92:93], 3, v[24:25]
	v_lshlrev_b32_e32 v0, 3, v19
	v_add_nc_u32_e32 v19, 63, v75
	v_mul_hi_u32 v24, 0x86d90545, v75
	s_clause 0x2
	global_load_b128 v[80:83], v0, s[4:5] offset:1920
	global_load_b128 v[84:87], v0, s[4:5] offset:1952
	;; [unrolled: 1-line block ×3, first 2 shown]
	v_add_co_u32 v100, vcc_lo, s4, v92
	s_wait_alu 0xfffd
	v_add_co_ci_u32_e32 v101, vcc_lo, s5, v93, vcc_lo
	v_add3_u32 v4, v4, v74, v63
	s_clause 0x2
	global_load_b128 v[92:95], v[100:101], off offset:1920
	global_load_b128 v[96:99], v[100:101], off offset:1952
	;; [unrolled: 1-line block ×3, first 2 shown]
	v_add_nc_u32_e32 v63, 0x7e, v75
	v_lshlrev_b64_e32 v[3:4], 3, v[3:4]
	s_wait_loadcnt_dscnt 0x807
	v_mul_f32_e32 v110, v58, v69
	v_mul_hi_u32 v0, 0x86d90545, v19
	s_wait_loadcnt_dscnt 0x602
	v_dual_mul_f32 v74, v60, v79 :: v_dual_mul_f32 v109, v55, v77
	v_mul_f32_e32 v77, v33, v77
	v_mul_f32_e32 v69, v40, v69
	s_wait_dscnt 0x1
	v_mul_f32_e32 v111, v51, v71
	v_dual_mul_f32 v71, v31, v71 :: v_dual_fmac_f32 v110, v40, v68
	v_lshrrev_b32_e32 v104, 7, v0
	v_lshrrev_b32_e32 v0, 7, v24
	s_wait_loadcnt 0x4
	v_dual_mul_f32 v112, v45, v81 :: v_dual_mul_f32 v113, v56, v87
	s_wait_loadcnt 0x3
	v_mul_f32_e32 v114, v48, v91
	v_mul_lo_u32 v24, 0xf3, v104
	v_mul_lo_u32 v105, 0xf3, v0
	v_fmac_f32_e32 v112, v23, v80
	v_lshlrev_b64_e32 v[0:1], 3, v[1:2]
	v_dual_mul_f32 v115, v59, v89 :: v_dual_mul_f32 v116, v46, v83
	v_dual_mul_f32 v117, v61, v85 :: v_dual_fmac_f32 v114, v28, v90
	v_sub_nc_u32_e32 v2, v19, v24
	v_sub_nc_u32_e32 v19, v75, v105
	v_mul_f32_e32 v87, v34, v87
	v_dual_mul_f32 v81, v23, v81 :: v_dual_fmac_f32 v116, v26, v82
	s_delay_alu instid0(VALU_DEP_4)
	v_mad_co_u64_u32 v[104:105], null, 0x6a5, v104, v[2:3]
	v_add_co_u32 v2, vcc_lo, s10, v3
	s_wait_alu 0xfffd
	v_add_co_ci_u32_e32 v3, vcc_lo, s11, v4, vcc_lo
	s_wait_dscnt 0x0
	v_dual_mul_f32 v19, v14, v73 :: v_dual_lshlrev_b32 v4, 3, v19
	s_delay_alu instid0(VALU_DEP_4) | instskip(SKIP_3) | instid1(VALU_DEP_3)
	v_add_nc_u32_e32 v24, 0xf3, v104
	v_add_co_u32 v2, vcc_lo, v2, v0
	s_wait_alu 0xfffd
	v_add_co_ci_u32_e32 v3, vcc_lo, v3, v1, vcc_lo
	v_lshlrev_b64_e32 v[107:108], 3, v[24:25]
	v_add_nc_u32_e32 v24, 0x1e6, v104
	v_add_co_u32 v0, vcc_lo, v2, v4
	v_mul_f32_e32 v4, v53, v67
	v_mul_f32_e32 v79, v42, v79
	v_fmac_f32_e32 v111, v31, v70
	v_mul_f32_e32 v73, v65, v73
	v_dual_mul_f32 v67, v37, v67 :: v_dual_fmac_f32 v74, v42, v78
	v_fmac_f32_e32 v4, v37, v66
	v_fmac_f32_e32 v19, v65, v72
	v_fma_f32 v37, v60, v78, -v79
	v_fma_f32 v42, v58, v68, -v69
	v_dual_sub_f32 v68, v110, v111 :: v_dual_fmac_f32 v109, v33, v76
	v_fma_f32 v33, v55, v76, -v77
	v_mul_f32_e32 v91, v28, v91
	v_mul_f32_e32 v89, v41, v89
	;; [unrolled: 1-line block ×3, first 2 shown]
	v_fma_f32 v14, v14, v72, -v73
	v_fma_f32 v31, v53, v66, -v67
	v_mul_f32_e32 v83, v26, v83
	v_fma_f32 v40, v51, v70, -v71
	s_wait_loadcnt 0x0
	v_dual_fmac_f32 v113, v34, v86 :: v_dual_mul_f32 v60, v29, v103
	v_dual_fmac_f32 v115, v41, v88 :: v_dual_mul_f32 v58, v36, v93
	v_fma_f32 v23, v56, v86, -v87
	v_mul_f32_e32 v56, v35, v99
	v_sub_f32_e32 v66, v4, v19
	v_add_f32_e32 v4, v4, v19
	v_add_f32_e32 v70, v37, v33
	v_fma_f32 v34, v48, v90, -v91
	v_dual_mul_f32 v48, v49, v103 :: v_dual_fmac_f32 v117, v43, v84
	v_add_f32_e32 v72, v110, v111
	v_mul_f32_e32 v53, v47, v95
	v_fma_f32 v26, v45, v80, -v81
	v_fma_f32 v28, v59, v88, -v89
	v_mul_f32_e32 v45, v52, v93
	v_mul_f32_e32 v65, v27, v95
	v_dual_add_f32 v69, v31, v14 :: v_dual_add_f32 v78, v114, v115
	v_dual_add_f32 v19, v74, v109 :: v_dual_sub_f32 v14, v31, v14
	v_fma_f32 v43, v46, v82, -v83
	v_mul_f32_e32 v46, v57, v99
	v_fma_f32 v41, v61, v84, -v85
	v_add_f32_e32 v71, v42, v40
	v_sub_f32_e32 v31, v37, v33
	v_dual_sub_f32 v33, v42, v40 :: v_dual_sub_f32 v42, v116, v117
	v_fmac_f32_e32 v53, v27, v94
	v_fma_f32 v27, v57, v98, -v56
	v_dual_add_f32 v56, v4, v72 :: v_dual_sub_f32 v67, v74, v109
	v_dual_mul_f32 v51, v54, v101 :: v_dual_fmac_f32 v46, v35, v98
	v_dual_mul_f32 v55, v50, v97 :: v_dual_fmac_f32 v48, v29, v102
	v_dual_mul_f32 v59, v32, v101 :: v_dual_add_f32 v74, v34, v28
	v_dual_sub_f32 v37, v112, v113 :: v_dual_sub_f32 v40, v114, v115
	v_add_f32_e32 v76, v43, v41
	v_mul_f32_e32 v61, v30, v97
	v_fmac_f32_e32 v45, v36, v92
	v_fma_f32 v29, v52, v92, -v58
	v_sub_f32_e32 v52, v4, v19
	v_sub_f32_e32 v36, v66, v67
	v_add_f32_e32 v73, v26, v23
	v_sub_f32_e32 v23, v26, v23
	v_sub_f32_e32 v26, v34, v28
	;; [unrolled: 1-line block ×3, first 2 shown]
	v_add_f32_e32 v77, v112, v113
	v_add_f32_e32 v79, v116, v117
	v_fmac_f32_e32 v55, v30, v96
	v_fma_f32 v30, v54, v100, -v59
	v_fma_f32 v34, v50, v96, -v61
	;; [unrolled: 1-line block ×3, first 2 shown]
	v_add_f32_e32 v43, v67, v68
	v_sub_f32_e32 v54, v19, v72
	v_sub_f32_e32 v41, v67, v68
	s_delay_alu instid0(VALU_DEP_4)
	v_dual_sub_f32 v57, v14, v31 :: v_dual_add_f32 v86, v35, v34
	v_sub_f32_e32 v58, v31, v33
	v_dual_add_f32 v31, v31, v33 :: v_dual_add_f32 v84, v29, v27
	v_sub_f32_e32 v4, v72, v4
	v_sub_f32_e32 v61, v37, v40
	;; [unrolled: 1-line block ×3, first 2 shown]
	v_add_f32_e32 v40, v40, v42
	v_dual_sub_f32 v59, v68, v66 :: v_dual_sub_f32 v68, v74, v76
	v_sub_f32_e32 v82, v26, v28
	v_dual_fmac_f32 v51, v32, v100 :: v_dual_add_f32 v80, v77, v79
	v_fma_f32 v32, v49, v102, -v60
	v_sub_f32_e32 v47, v69, v70
	v_sub_f32_e32 v49, v70, v71
	v_add_f32_e32 v50, v69, v71
	v_dual_sub_f32 v60, v71, v69 :: v_dual_sub_f32 v33, v33, v14
	v_dual_sub_f32 v71, v77, v78 :: v_dual_add_f32 v14, v14, v31
	v_sub_f32_e32 v72, v78, v79
	v_dual_sub_f32 v42, v42, v37 :: v_dual_add_f32 v85, v32, v30
	v_sub_f32_e32 v29, v29, v27
	v_dual_sub_f32 v27, v32, v30 :: v_dual_mul_f32 v32, 0x3f08b237, v41
	v_dual_sub_f32 v81, v23, v26 :: v_dual_add_f32 v26, v26, v28
	v_dual_sub_f32 v28, v28, v23 :: v_dual_sub_f32 v67, v73, v74
	v_add_f32_e32 v69, v73, v76
	v_dual_sub_f32 v83, v53, v55 :: v_dual_sub_f32 v30, v35, v34
	v_dual_add_f32 v34, v66, v43 :: v_dual_sub_f32 v73, v76, v73
	v_dual_sub_f32 v76, v79, v77 :: v_dual_sub_f32 v79, v48, v51
	v_add_f32_e32 v66, v78, v80
	v_add_f32_e32 v43, v70, v50
	v_mul_f32_e32 v50, 0x3d64c772, v54
	v_sub_f32_e32 v77, v45, v46
	v_dual_add_f32 v45, v45, v46 :: v_dual_add_f32 v46, v48, v51
	v_dual_add_f32 v48, v53, v55 :: v_dual_mul_f32 v51, 0x3f08b237, v58
	v_mul_f32_e32 v54, 0x3f08b237, v65
	v_dual_mul_f32 v58, 0x3f4a47b2, v71 :: v_dual_add_f32 v87, v84, v86
	v_mul_f32_e32 v65, 0x3d64c772, v72
	v_mul_f32_e32 v72, 0xbf5ff5aa, v28
	v_dual_add_f32 v19, v19, v56 :: v_dual_sub_f32 v88, v45, v46
	v_dual_mul_f32 v35, 0x3f4a47b2, v47 :: v_dual_sub_f32 v80, v84, v85
	s_delay_alu instid0(VALU_DEP_2)
	v_dual_mul_f32 v53, 0xbf5ff5aa, v33 :: v_dual_add_f32 v22, v22, v19
	v_dual_mul_f32 v55, 0x3d64c772, v68 :: v_dual_add_f32 v56, v74, v69
	v_mul_f32_e32 v68, 0x3f08b237, v82
	v_dual_mul_f32 v41, 0x3d64c772, v49 :: v_dual_sub_f32 v78, v79, v83
	v_dual_mul_f32 v49, 0x3f4a47b2, v52 :: v_dual_sub_f32 v82, v85, v86
	v_mul_f32_e32 v70, 0xbf5ff5aa, v42
	v_sub_f32_e32 v74, v77, v79
	v_dual_mul_f32 v31, 0xbf5ff5aa, v59 :: v_dual_sub_f32 v92, v27, v30
	v_dual_add_f32 v79, v79, v83 :: v_dual_add_f32 v90, v45, v48
	v_dual_add_f32 v37, v37, v40 :: v_dual_mul_f32 v40, 0x3f4a47b2, v67
	v_add_f32_e32 v69, v23, v26
	v_sub_f32_e32 v89, v46, v48
	v_add_f32_e32 v93, v27, v30
	v_dual_sub_f32 v83, v83, v77 :: v_dual_sub_f32 v84, v86, v84
	v_dual_sub_f32 v45, v48, v45 :: v_dual_add_f32 v46, v46, v90
	v_sub_f32_e32 v30, v30, v29
	v_fmamk_f32 v48, v36, 0xbeae86e6, v32
	v_add_f32_e32 v23, v44, v43
	v_fmamk_f32 v44, v52, 0x3f4a47b2, v50
	v_fmamk_f32 v52, v57, 0xbeae86e6, v51
	v_fma_f32 v36, 0x3eae86e6, v36, -v31
	v_fma_f32 v31, 0xbf3bfb3b, v60, -v35
	;; [unrolled: 1-line block ×7, first 2 shown]
	v_fmamk_f32 v50, v61, 0xbeae86e6, v54
	v_dual_add_f32 v26, v20, v66 :: v_dual_sub_f32 v91, v29, v27
	v_dual_fmamk_f32 v32, v67, 0x3f4a47b2, v55 :: v_dual_add_f32 v27, v38, v56
	v_fmamk_f32 v57, v81, 0xbeae86e6, v68
	v_fma_f32 v59, 0x3eae86e6, v61, -v70
	v_dual_add_f32 v61, v77, v79 :: v_dual_fmac_f32 v48, 0xbee1c552, v34
	v_fmamk_f32 v77, v19, 0xbf955555, v22
	v_fmamk_f32 v47, v47, 0x3f4a47b2, v41
	v_fma_f32 v41, 0x3f3bfb3b, v60, -v41
	v_fma_f32 v60, 0xbf5ff5aa, v28, -v68
	v_add_f32_e32 v68, v85, v87
	v_fma_f32 v38, 0xbf3bfb3b, v73, -v40
	v_fma_f32 v40, 0xbf3bfb3b, v76, -v58
	;; [unrolled: 1-line block ×6, first 2 shown]
	v_mul_f32_e32 v42, 0x3f08b237, v78
	v_mul_f32_e32 v70, 0x3f4a47b2, v88
	v_dual_mul_f32 v72, 0x3f08b237, v92 :: v_dual_add_f32 v29, v29, v93
	v_fmac_f32_e32 v52, 0xbee1c552, v14
	v_mul_f32_e32 v76, 0xbf5ff5aa, v30
	v_fmamk_f32 v43, v43, 0xbf955555, v23
	v_dual_fmac_f32 v49, 0xbee1c552, v14 :: v_dual_fmac_f32 v50, 0xbee1c552, v37
	v_dual_fmac_f32 v53, 0xbee1c552, v34 :: v_dual_fmac_f32 v58, 0xbee1c552, v69
	;; [unrolled: 1-line block ×3, first 2 shown]
	v_fmamk_f32 v14, v56, 0xbf955555, v27
	v_dual_fmamk_f32 v33, v71, 0x3f4a47b2, v65 :: v_dual_add_f32 v4, v4, v77
	v_mul_f32_e32 v67, 0x3d64c772, v82
	v_dual_fmac_f32 v60, 0xbee1c552, v69 :: v_dual_add_f32 v19, v21, v46
	v_add_f32_e32 v20, v39, v68
	v_dual_fmac_f32 v36, 0xbee1c552, v34 :: v_dual_fmac_f32 v57, 0xbee1c552, v69
	v_fmamk_f32 v34, v66, 0xbf955555, v26
	v_mul_f32_e32 v71, 0x3d64c772, v89
	v_mul_f32_e32 v73, 0xbf5ff5aa, v83
	v_fmac_f32_e32 v59, 0xbee1c552, v37
	v_fmamk_f32 v56, v74, 0xbeae86e6, v42
	v_add_f32_e32 v78, v33, v34
	v_fmamk_f32 v68, v68, 0xbf955555, v20
	v_fma_f32 v73, 0x3eae86e6, v74, -v73
	v_fma_f32 v74, 0x3eae86e6, v91, -v76
	;; [unrolled: 1-line block ×3, first 2 shown]
	v_dual_add_f32 v42, v44, v77 :: v_dual_add_f32 v39, v47, v43
	v_fmamk_f32 v69, v88, 0x3f4a47b2, v71
	v_fma_f32 v71, 0x3f3bfb3b, v45, -v71
	v_dual_add_f32 v37, v31, v43 :: v_dual_fmac_f32 v56, 0xbee1c552, v61
	v_dual_add_f32 v44, v35, v77 :: v_dual_mul_f32 v65, 0x3f4a47b2, v80
	v_fmamk_f32 v66, v80, 0x3f4a47b2, v67
	v_fmamk_f32 v21, v91, 0xbeae86e6, v72
	v_fma_f32 v72, 0xbf5ff5aa, v30, -v72
	s_delay_alu instid0(VALU_DEP_4)
	v_dual_sub_f32 v30, v44, v49 :: v_dual_add_f32 v35, v41, v43
	v_dual_add_f32 v77, v32, v14 :: v_dual_fmac_f32 v74, 0xbee1c552, v29
	v_dual_add_f32 v79, v38, v14 :: v_dual_fmac_f32 v76, 0xbee1c552, v61
	v_add_f32_e32 v14, v55, v14
	v_dual_add_f32 v55, v28, v34 :: v_dual_fmac_f32 v72, 0xbee1c552, v29
	v_dual_fmamk_f32 v81, v46, 0xbf955555, v19 :: v_dual_add_f32 v32, v51, v4
	v_add_f32_e32 v80, v40, v34
	s_wait_alu 0xfffd
	v_add_co_ci_u32_e32 v1, vcc_lo, 0, v3, vcc_lo
	v_fma_f32 v65, 0xbf3bfb3b, v84, -v65
	v_fma_f32 v70, 0xbf3bfb3b, v45, -v70
	;; [unrolled: 1-line block ×3, first 2 shown]
	v_dual_fmac_f32 v21, 0xbee1c552, v29 :: v_dual_sub_f32 v34, v4, v51
	v_fmac_f32_e32 v73, 0xbee1c552, v61
	v_dual_add_f32 v31, v36, v37 :: v_dual_sub_f32 v46, v55, v60
	v_sub_f32_e32 v37, v37, v36
	v_add_f32_e32 v36, v49, v44
	v_add_f32_e32 v44, v60, v55
	v_dual_sub_f32 v49, v79, v59 :: v_dual_add_f32 v4, v66, v68
	v_add_f32_e32 v55, v71, v81
	v_dual_add_f32 v29, v48, v39 :: v_dual_sub_f32 v40, v78, v57
	v_sub_f32_e32 v28, v42, v52
	v_sub_f32_e32 v39, v39, v48
	v_add_f32_e32 v41, v50, v77
	v_sub_f32_e32 v45, v14, v54
	v_dual_add_f32 v47, v54, v14 :: v_dual_add_f32 v54, v67, v68
	v_add_f32_e32 v14, v69, v81
	v_sub_f32_e32 v51, v77, v50
	v_dual_add_f32 v50, v57, v78 :: v_dual_add_f32 v43, v59, v79
	v_dual_add_f32 v48, v58, v80 :: v_dual_sub_f32 v33, v35, v53
	v_dual_add_f32 v38, v52, v42 :: v_dual_add_f32 v35, v53, v35
	v_sub_f32_e32 v42, v80, v58
	v_dual_add_f32 v52, v65, v68 :: v_dual_add_f32 v53, v70, v81
	s_clause 0x6
	global_store_b64 v[0:1], v[26:27], off
	global_store_b64 v[0:1], v[50:51], off offset:1944
	global_store_b64 v[0:1], v[48:49], off offset:3888
	;; [unrolled: 1-line block ×6, first 2 shown]
	v_add_f32_e32 v40, v72, v55
	v_add_f32_e32 v1, v56, v4
	v_sub_f32_e32 v47, v4, v56
	v_mul_hi_u32 v4, 0x86d90545, v63
	v_dual_mov_b32 v105, v25 :: v_dual_sub_f32 v0, v14, v21
	v_dual_sub_f32 v41, v54, v76 :: v_dual_add_f32 v46, v21, v14
	v_sub_f32_e32 v45, v52, v73
	s_delay_alu instid0(VALU_DEP_3)
	v_lshlrev_b64_e32 v[105:106], 3, v[104:105]
	v_lshlrev_b64_e32 v[50:51], 3, v[24:25]
	v_add_nc_u32_e32 v24, 0x2d9, v104
	v_lshrrev_b32_e32 v14, 7, v4
	v_add_f32_e32 v27, v73, v52
	v_sub_f32_e32 v26, v53, v74
	v_add_co_u32 v48, vcc_lo, v2, v105
	s_delay_alu instid0(VALU_DEP_4)
	v_mul_lo_u32 v4, 0xf3, v14
	s_wait_alu 0xfffd
	v_add_co_ci_u32_e32 v49, vcc_lo, v3, v106, vcc_lo
	v_dual_add_f32 v43, v76, v54 :: v_dual_sub_f32 v42, v55, v72
	v_add_co_u32 v52, vcc_lo, v2, v107
	v_lshlrev_b64_e32 v[54:55], 3, v[24:25]
	v_add_f32_e32 v44, v74, v53
	s_wait_alu 0xfffd
	v_add_co_ci_u32_e32 v53, vcc_lo, v3, v108, vcc_lo
	v_add_co_u32 v50, vcc_lo, v2, v50
	s_wait_alu 0xfffd
	v_add_co_ci_u32_e32 v51, vcc_lo, v3, v51, vcc_lo
	v_sub_nc_u32_e32 v4, v63, v4
	v_add_nc_u32_e32 v24, 0x3cc, v104
	v_add_co_u32 v54, vcc_lo, v2, v54
	s_wait_alu 0xfffd
	v_add_co_ci_u32_e32 v55, vcc_lo, v3, v55, vcc_lo
	s_clause 0x3
	global_store_b64 v[48:49], v[19:20], off
	global_store_b64 v[52:53], v[46:47], off
	;; [unrolled: 1-line block ×4, first 2 shown]
	v_mad_co_u64_u32 v[46:47], null, 0x6a5, v14, v[4:5]
	v_mov_b32_e32 v47, v25
	v_lshlrev_b64_e32 v[56:57], 3, v[24:25]
	v_add_nc_u32_e32 v24, 0x4bf, v104
	s_delay_alu instid0(VALU_DEP_3) | instskip(NEXT) | instid1(VALU_DEP_2)
	v_lshlrev_b64_e32 v[47:48], 3, v[46:47]
	v_lshlrev_b64_e32 v[19:20], 3, v[24:25]
	v_add_nc_u32_e32 v24, 0x5b2, v104
	v_add_co_u32 v42, vcc_lo, v2, v56
	s_wait_alu 0xfffd
	v_add_co_ci_u32_e32 v43, vcc_lo, v3, v57, vcc_lo
	s_delay_alu instid0(VALU_DEP_3) | instskip(SKIP_4) | instid1(VALU_DEP_4)
	v_lshlrev_b64_e32 v[44:45], 3, v[24:25]
	v_add_co_u32 v19, vcc_lo, v2, v19
	s_wait_alu 0xfffd
	v_add_co_ci_u32_e32 v20, vcc_lo, v3, v20, vcc_lo
	v_add_nc_u32_e32 v24, 0xf3, v46
	v_add_co_u32 v44, vcc_lo, v2, v44
	s_wait_alu 0xfffd
	v_add_co_ci_u32_e32 v45, vcc_lo, v3, v45, vcc_lo
	s_clause 0x2
	global_store_b64 v[42:43], v[40:41], off
	global_store_b64 v[19:20], v[26:27], off
	;; [unrolled: 1-line block ×3, first 2 shown]
	v_lshlrev_b64_e32 v[0:1], 3, v[24:25]
	v_add_nc_u32_e32 v24, 0x1e6, v46
	v_add_co_u32 v19, vcc_lo, v2, v47
	s_wait_alu 0xfffd
	v_add_co_ci_u32_e32 v20, vcc_lo, v3, v48, vcc_lo
	s_delay_alu instid0(VALU_DEP_3) | instskip(SKIP_4) | instid1(VALU_DEP_3)
	v_lshlrev_b64_e32 v[26:27], 3, v[24:25]
	v_add_nc_u32_e32 v24, 0x2d9, v46
	v_add_co_u32 v40, vcc_lo, v2, v0
	s_wait_alu 0xfffd
	v_add_co_ci_u32_e32 v41, vcc_lo, v3, v1, vcc_lo
	v_lshlrev_b64_e32 v[0:1], 3, v[24:25]
	v_add_nc_u32_e32 v24, 0x3cc, v46
	v_add_co_u32 v26, vcc_lo, v2, v26
	s_wait_alu 0xfffd
	v_add_co_ci_u32_e32 v27, vcc_lo, v3, v27, vcc_lo
	s_delay_alu instid0(VALU_DEP_3) | instskip(SKIP_4) | instid1(VALU_DEP_3)
	v_lshlrev_b64_e32 v[42:43], 3, v[24:25]
	v_add_nc_u32_e32 v24, 0x4bf, v46
	v_add_co_u32 v44, vcc_lo, v2, v0
	s_wait_alu 0xfffd
	v_add_co_ci_u32_e32 v45, vcc_lo, v3, v1, vcc_lo
	v_lshlrev_b64_e32 v[0:1], 3, v[24:25]
	v_add_nc_u32_e32 v24, 0x5b2, v46
	v_add_co_u32 v42, vcc_lo, v2, v42
	s_wait_alu 0xfffd
	v_add_co_ci_u32_e32 v43, vcc_lo, v3, v43, vcc_lo
	s_delay_alu instid0(VALU_DEP_3) | instskip(SKIP_4) | instid1(VALU_DEP_4)
	v_lshlrev_b64_e32 v[46:47], 3, v[24:25]
	v_add_co_u32 v48, vcc_lo, v2, v0
	v_add_nc_u32_e32 v0, 0xbd, v75
	s_wait_alu 0xfffd
	v_add_co_ci_u32_e32 v49, vcc_lo, v3, v1, vcc_lo
	v_add_co_u32 v46, vcc_lo, v2, v46
	s_wait_alu 0xfffd
	v_add_co_ci_u32_e32 v47, vcc_lo, v3, v47, vcc_lo
	v_cmp_gt_u32_e32 vcc_lo, 0xf3, v0
	s_clause 0x6
	global_store_b64 v[19:20], v[22:23], off
	global_store_b64 v[40:41], v[38:39], off
	global_store_b64 v[26:27], v[36:37], off
	global_store_b64 v[44:45], v[34:35], off
	global_store_b64 v[42:43], v[32:33], off
	global_store_b64 v[48:49], v[30:31], off
	global_store_b64 v[46:47], v[28:29], off
	s_and_b32 exec_lo, exec_lo, vcc_lo
	s_cbranch_execz .LBB0_20
; %bb.19:
	v_subrev_nc_u32_e32 v1, 54, v75
	s_delay_alu instid0(VALU_DEP_1) | instskip(NEXT) | instid1(VALU_DEP_1)
	v_cndmask_b32_e64 v1, v1, v62, s0
	v_mul_i32_i24_e32 v24, 6, v1
	v_mov_b32_e32 v1, v25
	s_delay_alu instid0(VALU_DEP_2) | instskip(NEXT) | instid1(VALU_DEP_1)
	v_lshlrev_b64_e32 v[19:20], 3, v[24:25]
	v_add_co_u32 v23, vcc_lo, s4, v19
	s_wait_alu 0xfffd
	s_delay_alu instid0(VALU_DEP_2)
	v_add_co_ci_u32_e32 v24, vcc_lo, s5, v20, vcc_lo
	s_clause 0x2
	global_load_b128 v[19:22], v[23:24], off offset:1920
	global_load_b128 v[26:29], v[23:24], off offset:1936
	;; [unrolled: 1-line block ×3, first 2 shown]
	v_add_nc_u32_e32 v24, 0x1b0, v75
	v_lshlrev_b64_e32 v[0:1], 3, v[0:1]
	s_delay_alu instid0(VALU_DEP_2) | instskip(SKIP_1) | instid1(VALU_DEP_3)
	v_lshlrev_b64_e32 v[34:35], 3, v[24:25]
	v_add_nc_u32_e32 v24, 0x2a3, v75
	v_add_co_u32 v0, vcc_lo, v2, v0
	s_wait_alu 0xfffd
	s_delay_alu instid0(VALU_DEP_4) | instskip(NEXT) | instid1(VALU_DEP_3)
	v_add_co_ci_u32_e32 v1, vcc_lo, v3, v1, vcc_lo
	v_lshlrev_b64_e32 v[36:37], 3, v[24:25]
	v_add_nc_u32_e32 v24, 0x396, v75
	v_add_co_u32 v34, vcc_lo, v2, v34
	s_wait_alu 0xfffd
	v_add_co_ci_u32_e32 v35, vcc_lo, v3, v35, vcc_lo
	s_delay_alu instid0(VALU_DEP_3) | instskip(SKIP_4) | instid1(VALU_DEP_4)
	v_lshlrev_b64_e32 v[38:39], 3, v[24:25]
	v_add_nc_u32_e32 v24, 0x489, v75
	v_add_co_u32 v36, vcc_lo, v2, v36
	s_wait_alu 0xfffd
	v_add_co_ci_u32_e32 v37, vcc_lo, v3, v37, vcc_lo
	v_add_co_u32 v38, vcc_lo, v2, v38
	s_wait_alu 0xfffd
	v_add_co_ci_u32_e32 v39, vcc_lo, v3, v39, vcc_lo
	s_wait_loadcnt 0x2
	v_mul_f32_e32 v4, v17, v20
	s_wait_loadcnt 0x0
	v_mul_f32_e32 v44, v7, v33
	v_mul_f32_e32 v33, v64, v33
	v_lshlrev_b64_e32 v[40:41], 3, v[24:25]
	v_add_nc_u32_e32 v24, 0x57c, v75
	s_delay_alu instid0(VALU_DEP_1) | instskip(SKIP_1) | instid1(VALU_DEP_4)
	v_lshlrev_b64_e32 v[42:43], 3, v[24:25]
	v_add_nc_u32_e32 v24, 0x66f, v75
	v_add_co_u32 v40, vcc_lo, v2, v40
	s_wait_alu 0xfffd
	v_add_co_ci_u32_e32 v41, vcc_lo, v3, v41, vcc_lo
	s_delay_alu instid0(VALU_DEP_3) | instskip(SKIP_4) | instid1(VALU_DEP_4)
	v_lshlrev_b64_e32 v[23:24], 3, v[24:25]
	v_add_co_u32 v42, vcc_lo, v2, v42
	s_wait_alu 0xfffd
	v_add_co_ci_u32_e32 v43, vcc_lo, v3, v43, vcc_lo
	v_mul_f32_e32 v25, v18, v29
	v_add_co_u32 v2, vcc_lo, v2, v23
	s_wait_alu 0xfffd
	v_add_co_ci_u32_e32 v3, vcc_lo, v3, v24, vcc_lo
	s_delay_alu instid0(VALU_DEP_3)
	v_fmac_f32_e32 v25, v6, v28
	v_mul_f32_e32 v23, v10, v27
	v_dual_mul_f32 v24, v15, v27 :: v_dual_mul_f32 v27, v6, v29
	v_mul_f32_e32 v29, v9, v31
	v_mul_f32_e32 v31, v5, v31
	v_fma_f32 v6, v7, v32, -v33
	v_fmac_f32_e32 v23, v15, v26
	v_fma_f32 v7, v18, v28, -v27
	v_fmac_f32_e32 v29, v5, v30
	v_mul_f32_e32 v14, v13, v20
	v_mul_f32_e32 v20, v11, v22
	v_fma_f32 v10, v10, v26, -v24
	v_mul_f32_e32 v22, v8, v22
	v_fma_f32 v5, v9, v30, -v31
	v_sub_f32_e32 v18, v25, v23
	v_fmac_f32_e32 v20, v8, v21
	v_fmac_f32_e32 v4, v13, v19
	v_fma_f32 v13, v17, v19, -v14
	v_add_f32_e32 v17, v10, v7
	v_fma_f32 v8, v11, v21, -v22
	v_sub_f32_e32 v15, v20, v29
	v_sub_f32_e32 v7, v7, v10
	v_dual_add_f32 v11, v13, v6 :: v_dual_fmac_f32 v44, v64, v32
	v_dual_sub_f32 v6, v13, v6 :: v_dual_add_f32 v13, v20, v29
	s_delay_alu instid0(VALU_DEP_4) | instskip(NEXT) | instid1(VALU_DEP_3)
	v_add_f32_e32 v22, v18, v15
	v_dual_sub_f32 v24, v18, v15 :: v_dual_add_f32 v9, v4, v44
	v_add_f32_e32 v14, v8, v5
	v_sub_f32_e32 v5, v8, v5
	v_add_f32_e32 v8, v23, v25
	s_delay_alu instid0(VALU_DEP_4) | instskip(SKIP_1) | instid1(VALU_DEP_4)
	v_add_f32_e32 v10, v13, v9
	v_sub_f32_e32 v20, v13, v9
	v_add_f32_e32 v23, v7, v5
	s_delay_alu instid0(VALU_DEP_4) | instskip(SKIP_4) | instid1(VALU_DEP_4)
	v_sub_f32_e32 v9, v9, v8
	v_dual_sub_f32 v4, v4, v44 :: v_dual_add_f32 v19, v14, v11
	v_sub_f32_e32 v21, v14, v11
	v_dual_sub_f32 v11, v11, v17 :: v_dual_sub_f32 v14, v17, v14
	v_sub_f32_e32 v13, v8, v13
	v_dual_sub_f32 v25, v7, v5 :: v_dual_sub_f32 v18, v4, v18
	;; [unrolled: 2-line block ×3, first 2 shown]
	v_dual_add_f32 v8, v8, v10 :: v_dual_mul_f32 v9, 0x3f4a47b2, v9
	v_dual_add_f32 v10, v17, v19 :: v_dual_mul_f32 v19, 0x3d64c772, v13
	;; [unrolled: 1-line block ×4, first 2 shown]
	v_dual_mul_f32 v23, 0x3f08b237, v24 :: v_dual_mul_f32 v24, 0x3f08b237, v25
	v_dual_mul_f32 v25, 0xbf5ff5aa, v15 :: v_dual_add_f32 v4, v12, v8
	v_dual_add_f32 v5, v16, v10 :: v_dual_fmamk_f32 v12, v13, 0x3d64c772, v9
	v_fmamk_f32 v13, v14, 0x3d64c772, v11
	v_fma_f32 v14, 0x3f3bfb3b, v20, -v19
	v_mul_f32_e32 v27, 0xbf5ff5aa, v26
	v_fma_f32 v16, 0x3f3bfb3b, v21, -v22
	v_fma_f32 v9, 0xbf3bfb3b, v20, -v9
	;; [unrolled: 1-line block ×3, first 2 shown]
	v_dual_fmamk_f32 v19, v18, 0xbeae86e6, v23 :: v_dual_fmamk_f32 v20, v7, 0xbeae86e6, v24
	v_fma_f32 v15, 0xbf5ff5aa, v15, -v23
	v_fma_f32 v21, 0xbf5ff5aa, v26, -v24
	;; [unrolled: 1-line block ×4, first 2 shown]
	v_dual_fmamk_f32 v7, v8, 0xbf955555, v4 :: v_dual_fmamk_f32 v8, v10, 0xbf955555, v5
	v_dual_fmac_f32 v19, 0xbee1c552, v17 :: v_dual_fmac_f32 v20, 0xbee1c552, v6
	s_delay_alu instid0(VALU_DEP_3) | instskip(SKIP_1) | instid1(VALU_DEP_4)
	v_dual_fmac_f32 v15, 0xbee1c552, v17 :: v_dual_fmac_f32 v22, 0xbee1c552, v6
	v_dual_fmac_f32 v21, 0xbee1c552, v6 :: v_dual_fmac_f32 v18, 0xbee1c552, v17
	v_dual_add_f32 v17, v12, v7 :: v_dual_add_f32 v24, v11, v8
	v_dual_add_f32 v23, v13, v8 :: v_dual_add_f32 v12, v14, v7
	;; [unrolled: 1-line block ×3, first 2 shown]
	s_delay_alu instid0(VALU_DEP_2) | instskip(NEXT) | instid1(VALU_DEP_4)
	v_dual_add_f32 v6, v20, v17 :: v_dual_sub_f32 v7, v23, v19
	v_sub_f32_e32 v9, v24, v18
	s_delay_alu instid0(VALU_DEP_3)
	v_add_f32_e32 v8, v22, v14
	v_sub_f32_e32 v10, v12, v21
	v_dual_add_f32 v11, v15, v13 :: v_dual_sub_f32 v14, v14, v22
	v_add_f32_e32 v12, v21, v12
	v_sub_f32_e32 v13, v13, v15
	v_add_f32_e32 v15, v18, v24
	v_dual_sub_f32 v16, v17, v20 :: v_dual_add_f32 v17, v19, v23
	s_clause 0x6
	global_store_b64 v[0:1], v[4:5], off
	global_store_b64 v[34:35], v[6:7], off
	;; [unrolled: 1-line block ×7, first 2 shown]
.LBB0_20:
	s_nop 0
	s_sendmsg sendmsg(MSG_DEALLOC_VGPRS)
	s_endpgm
	.section	.rodata,"a",@progbits
	.p2align	6, 0x0
	.amdhsa_kernel fft_rtc_back_len1701_factors_3_3_3_3_3_7_wgs_63_tpt_63_halfLds_sp_op_CI_CI_unitstride_sbrr_dirReg
		.amdhsa_group_segment_fixed_size 0
		.amdhsa_private_segment_fixed_size 0
		.amdhsa_kernarg_size 104
		.amdhsa_user_sgpr_count 2
		.amdhsa_user_sgpr_dispatch_ptr 0
		.amdhsa_user_sgpr_queue_ptr 0
		.amdhsa_user_sgpr_kernarg_segment_ptr 1
		.amdhsa_user_sgpr_dispatch_id 0
		.amdhsa_user_sgpr_private_segment_size 0
		.amdhsa_wavefront_size32 1
		.amdhsa_uses_dynamic_stack 0
		.amdhsa_enable_private_segment 0
		.amdhsa_system_sgpr_workgroup_id_x 1
		.amdhsa_system_sgpr_workgroup_id_y 0
		.amdhsa_system_sgpr_workgroup_id_z 0
		.amdhsa_system_sgpr_workgroup_info 0
		.amdhsa_system_vgpr_workitem_id 0
		.amdhsa_next_free_vgpr 130
		.amdhsa_next_free_sgpr 39
		.amdhsa_reserve_vcc 1
		.amdhsa_float_round_mode_32 0
		.amdhsa_float_round_mode_16_64 0
		.amdhsa_float_denorm_mode_32 3
		.amdhsa_float_denorm_mode_16_64 3
		.amdhsa_fp16_overflow 0
		.amdhsa_workgroup_processor_mode 1
		.amdhsa_memory_ordered 1
		.amdhsa_forward_progress 0
		.amdhsa_round_robin_scheduling 0
		.amdhsa_exception_fp_ieee_invalid_op 0
		.amdhsa_exception_fp_denorm_src 0
		.amdhsa_exception_fp_ieee_div_zero 0
		.amdhsa_exception_fp_ieee_overflow 0
		.amdhsa_exception_fp_ieee_underflow 0
		.amdhsa_exception_fp_ieee_inexact 0
		.amdhsa_exception_int_div_zero 0
	.end_amdhsa_kernel
	.text
.Lfunc_end0:
	.size	fft_rtc_back_len1701_factors_3_3_3_3_3_7_wgs_63_tpt_63_halfLds_sp_op_CI_CI_unitstride_sbrr_dirReg, .Lfunc_end0-fft_rtc_back_len1701_factors_3_3_3_3_3_7_wgs_63_tpt_63_halfLds_sp_op_CI_CI_unitstride_sbrr_dirReg
                                        ; -- End function
	.section	.AMDGPU.csdata,"",@progbits
; Kernel info:
; codeLenInByte = 17912
; NumSgprs: 41
; NumVgprs: 130
; ScratchSize: 0
; MemoryBound: 0
; FloatMode: 240
; IeeeMode: 1
; LDSByteSize: 0 bytes/workgroup (compile time only)
; SGPRBlocks: 5
; VGPRBlocks: 16
; NumSGPRsForWavesPerEU: 41
; NumVGPRsForWavesPerEU: 130
; Occupancy: 10
; WaveLimiterHint : 1
; COMPUTE_PGM_RSRC2:SCRATCH_EN: 0
; COMPUTE_PGM_RSRC2:USER_SGPR: 2
; COMPUTE_PGM_RSRC2:TRAP_HANDLER: 0
; COMPUTE_PGM_RSRC2:TGID_X_EN: 1
; COMPUTE_PGM_RSRC2:TGID_Y_EN: 0
; COMPUTE_PGM_RSRC2:TGID_Z_EN: 0
; COMPUTE_PGM_RSRC2:TIDIG_COMP_CNT: 0
	.text
	.p2alignl 7, 3214868480
	.fill 96, 4, 3214868480
	.type	__hip_cuid_5f267c5f1b3e4e29,@object ; @__hip_cuid_5f267c5f1b3e4e29
	.section	.bss,"aw",@nobits
	.globl	__hip_cuid_5f267c5f1b3e4e29
__hip_cuid_5f267c5f1b3e4e29:
	.byte	0                               ; 0x0
	.size	__hip_cuid_5f267c5f1b3e4e29, 1

	.ident	"AMD clang version 19.0.0git (https://github.com/RadeonOpenCompute/llvm-project roc-6.4.0 25133 c7fe45cf4b819c5991fe208aaa96edf142730f1d)"
	.section	".note.GNU-stack","",@progbits
	.addrsig
	.addrsig_sym __hip_cuid_5f267c5f1b3e4e29
	.amdgpu_metadata
---
amdhsa.kernels:
  - .args:
      - .actual_access:  read_only
        .address_space:  global
        .offset:         0
        .size:           8
        .value_kind:     global_buffer
      - .offset:         8
        .size:           8
        .value_kind:     by_value
      - .actual_access:  read_only
        .address_space:  global
        .offset:         16
        .size:           8
        .value_kind:     global_buffer
      - .actual_access:  read_only
        .address_space:  global
        .offset:         24
        .size:           8
        .value_kind:     global_buffer
      - .actual_access:  read_only
        .address_space:  global
        .offset:         32
        .size:           8
        .value_kind:     global_buffer
      - .offset:         40
        .size:           8
        .value_kind:     by_value
      - .actual_access:  read_only
        .address_space:  global
        .offset:         48
        .size:           8
        .value_kind:     global_buffer
      - .actual_access:  read_only
        .address_space:  global
        .offset:         56
        .size:           8
        .value_kind:     global_buffer
      - .offset:         64
        .size:           4
        .value_kind:     by_value
      - .actual_access:  read_only
        .address_space:  global
        .offset:         72
        .size:           8
        .value_kind:     global_buffer
      - .actual_access:  read_only
        .address_space:  global
        .offset:         80
        .size:           8
        .value_kind:     global_buffer
      - .actual_access:  read_only
        .address_space:  global
        .offset:         88
        .size:           8
        .value_kind:     global_buffer
      - .actual_access:  write_only
        .address_space:  global
        .offset:         96
        .size:           8
        .value_kind:     global_buffer
    .group_segment_fixed_size: 0
    .kernarg_segment_align: 8
    .kernarg_segment_size: 104
    .language:       OpenCL C
    .language_version:
      - 2
      - 0
    .max_flat_workgroup_size: 63
    .name:           fft_rtc_back_len1701_factors_3_3_3_3_3_7_wgs_63_tpt_63_halfLds_sp_op_CI_CI_unitstride_sbrr_dirReg
    .private_segment_fixed_size: 0
    .sgpr_count:     41
    .sgpr_spill_count: 0
    .symbol:         fft_rtc_back_len1701_factors_3_3_3_3_3_7_wgs_63_tpt_63_halfLds_sp_op_CI_CI_unitstride_sbrr_dirReg.kd
    .uniform_work_group_size: 1
    .uses_dynamic_stack: false
    .vgpr_count:     130
    .vgpr_spill_count: 0
    .wavefront_size: 32
    .workgroup_processor_mode: 1
amdhsa.target:   amdgcn-amd-amdhsa--gfx1201
amdhsa.version:
  - 1
  - 2
...

	.end_amdgpu_metadata
